;; amdgpu-corpus repo=zjin-lcf/HeCBench kind=compiled arch=gfx1030 opt=O3
	.amdgcn_target "amdgcn-amd-amdhsa--gfx1030"
	.amdhsa_code_object_version 6
	.text
	.protected	_Z7kernel1iiiiiiiiiiiiddPKdS0_S0_S0_S0_PdS0_S0_S0_S0_S0_S0_S0_ ; -- Begin function _Z7kernel1iiiiiiiiiiiiddPKdS0_S0_S0_S0_PdS0_S0_S0_S0_S0_S0_S0_
	.globl	_Z7kernel1iiiiiiiiiiiiddPKdS0_S0_S0_S0_PdS0_S0_S0_S0_S0_S0_S0_
	.p2align	8
	.type	_Z7kernel1iiiiiiiiiiiiddPKdS0_S0_S0_S0_PdS0_S0_S0_S0_S0_S0_S0_,@function
_Z7kernel1iiiiiiiiiiiiddPKdS0_S0_S0_S0_PdS0_S0_S0_S0_S0_S0_S0_: ; @_Z7kernel1iiiiiiiiiiiiddPKdS0_S0_S0_S0_PdS0_S0_S0_S0_S0_S0_S0_
; %bb.0:
	s_mov_b64 s[46:47], s[2:3]
	s_mov_b64 s[44:45], s[0:1]
	s_clause 0x1
	s_load_dwordx8 s[24:31], s[4:5], 0x0
	s_load_dwordx2 s[0:1], s[4:5], 0xb4
	s_add_u32 s44, s44, s9
	s_addc_u32 s45, s45, 0
	s_waitcnt lgkmcnt(0)
	v_add_nc_u32_e32 v10, s24, v0
	s_and_b32 s2, s0, 0xffff
	s_lshr_b32 s0, s0, 16
	s_and_b32 s1, s1, 0xffff
	s_mul_i32 s33, s6, s2
	s_mul_i32 s42, s7, s0
	;; [unrolled: 1-line block ×3, first 2 shown]
	v_add_nc_u32_e32 v14, s33, v10
	v_add3_u32 v11, s42, s26, v1
	v_add3_u32 v50, s8, s28, v2
	v_cmp_gt_i32_e32 vcc_lo, s25, v14
	v_cmp_gt_i32_e64 s0, s27, v11
	v_cmp_gt_i32_e64 s1, s29, v50
	s_and_b32 s0, vcc_lo, s0
	s_and_b32 s0, s0, s1
	s_and_saveexec_b32 s1, s0
	s_cbranch_execz .LBB0_12
; %bb.1:
	s_clause 0x4
	s_load_dwordx4 s[36:39], s[4:5], 0x98
	s_load_dwordx2 s[6:7], s[4:5], 0x80
	s_load_dwordx8 s[8:15], s[4:5], 0x60
	s_load_dwordx8 s[16:23], s[4:5], 0x40
	s_load_dwordx4 s[0:3], s[4:5], 0x20
	v_subrev_nc_u32_e32 v2, s30, v14
	s_sub_i32 s28, s31, s30
	v_add_nc_u32_e32 v66, -2, v14
	s_not_b32 s25, s28
	s_add_i32 s28, s28, 1
	v_ashrrev_i32_e32 v3, 31, v2
	v_mul_lo_u32 v25, v11, s28
	v_add_nc_u32_e32 v67, -1, v14
	v_add_nc_u32_e32 v72, 1, v14
	v_add_nc_u32_e32 v73, 2, v14
	v_lshlrev_b64 v[2:3], 3, v[2:3]
	s_mov_b32 s35, 1
	s_waitcnt lgkmcnt(0)
	v_add_co_u32 v6, vcc_lo, s36, v2
	v_add_co_ci_u32_e64 v7, null, s37, v3, vcc_lo
	s_sub_i32 s41, s1, s0
	s_mul_i32 s27, s0, s25
	s_clause 0x2
	global_load_dwordx2 v[62:63], v[6:7], off offset:16
	global_load_dwordx4 v[2:5], v[6:7], off
	global_load_dwordx4 v[93:96], v[6:7], off offset:-16
	v_subrev_nc_u32_e32 v6, s0, v11
	s_add_i32 s41, s41, 1
	v_add_nc_u32_e32 v11, -2, v11
	s_mul_i32 s25, s41, s28
	s_add_i32 s1, s26, s1
	v_ashrrev_i32_e32 v7, 31, v6
	s_mul_i32 s29, s25, s2
	v_mul_lo_u32 v11, v11, s28
	s_add_i32 s29, s30, s29
	v_add3_u32 v1, s42, s1, v1
	v_lshlrev_b64 v[6:7], 3, v[6:7]
	s_sub_i32 s34, s27, s29
	s_lshl_b32 s1, s3, 1
	v_add_co_u32 v12, vcc_lo, s38, v6
	v_add_co_ci_u32_e64 v13, null, s39, v7, vcc_lo
	s_clause 0x2
	global_load_dwordx2 v[68:69], v[12:13], off offset:16
	global_load_dwordx4 v[6:9], v[12:13], off
	global_load_dwordx4 v[77:80], v[12:13], off offset:-16
	v_add_nc_u32_e32 v13, s34, v14
	v_mul_lo_u32 v12, v50, s25
	v_add_nc_u32_e32 v30, v25, v13
	v_add3_u32 v29, v12, v25, s34
	v_add_nc_u32_e32 v15, v30, v12
	v_add_nc_u32_e32 v75, v12, v11
	;; [unrolled: 1-line block ×3, first 2 shown]
	v_ashrrev_i32_e32 v16, 31, v15
	v_ashrrev_i32_e32 v34, 31, v33
	v_lshlrev_b64 v[15:16], 3, v[15:16]
	v_lshlrev_b64 v[33:34], 3, v[33:34]
	v_add_co_u32 v17, vcc_lo, s8, v15
	v_add_co_ci_u32_e64 v18, null, s9, v16, vcc_lo
	s_sub_i32 s8, s3, s2
	s_add_i32 s8, s8, 1
	global_load_dwordx2 v[17:18], v[17:18], off
	s_mul_i32 s29, s8, s25
	s_waitcnt vmcnt(0)
	buffer_store_dword v17, off, s[44:47], 0 offset:240 ; 4-byte Folded Spill
	buffer_store_dword v18, off, s[44:47], 0 offset:244 ; 4-byte Folded Spill
	v_div_scale_f64 v[17:18], null, v[6:7], v[6:7], 1.0
	s_sub_i32 s36, s34, s29
	s_ashr_i32 s34, s29, 31
	s_ashr_i32 s8, s36, 31
	s_lshl_b32 s37, s29, 1
	s_mul_i32 s39, s29, 3
	s_ashr_i32 s38, s37, 31
	s_ashr_i32 s40, s39, 31
	v_rcp_f64_e32 v[19:20], v[17:18]
	v_fma_f64 v[21:22], -v[17:18], v[19:20], 1.0
	v_fma_f64 v[19:20], v[19:20], v[21:22], v[19:20]
	v_fma_f64 v[21:22], -v[17:18], v[19:20], 1.0
	v_fma_f64 v[19:20], v[19:20], v[21:22], v[19:20]
	v_div_scale_f64 v[21:22], vcc_lo, 1.0, v[6:7], 1.0
	v_mul_f64 v[23:24], v[21:22], v[19:20]
	v_fma_f64 v[17:18], -v[17:18], v[23:24], v[21:22]
	v_div_fmas_f64 v[17:18], v[17:18], v[19:20], v[23:24]
	v_div_fixup_f64 v[53:54], v[17:18], v[6:7], 1.0
	v_div_scale_f64 v[17:18], null, v[2:3], v[2:3], 1.0
	v_rcp_f64_e32 v[19:20], v[17:18]
	v_fma_f64 v[21:22], -v[17:18], v[19:20], 1.0
	v_fma_f64 v[19:20], v[19:20], v[21:22], v[19:20]
	v_fma_f64 v[21:22], -v[17:18], v[19:20], 1.0
	v_fma_f64 v[19:20], v[19:20], v[21:22], v[19:20]
	v_div_scale_f64 v[21:22], vcc_lo, 1.0, v[2:3], 1.0
	v_mul_f64 v[23:24], v[21:22], v[19:20]
	v_fma_f64 v[17:18], -v[17:18], v[23:24], v[21:22]
	v_div_fmas_f64 v[17:18], v[17:18], v[19:20], v[23:24]
	v_div_fixup_f64 v[55:56], v[17:18], v[2:3], 1.0
	v_add_nc_u32_e32 v17, v29, v66
	v_ashrrev_i32_e32 v18, 31, v17
	v_lshlrev_b64 v[17:18], 3, v[17:18]
	v_add_co_u32 v19, vcc_lo, s18, v17
	v_add_co_ci_u32_e64 v20, null, s19, v18, vcc_lo
	v_add_co_u32 v17, vcc_lo, s20, v17
	v_add_co_ci_u32_e64 v18, null, s21, v18, vcc_lo
	global_load_dwordx2 v[91:92], v[19:20], off
	v_ashrrev_i32_e32 v19, 31, v14
	v_add_co_u32 v20, vcc_lo, v14, s36
	global_load_dwordx2 v[17:18], v[17:18], off
	v_mul_f64 v[100:101], v[55:56], v[53:54]
	v_add_co_ci_u32_e64 v19, null, s8, v19, vcc_lo
	v_add_co_u32 v20, vcc_lo, v20, v25
	s_mov_b32 s8, 0x55555555
	s_mov_b32 s9, 0x3fc55555
	s_waitcnt vmcnt(0)
	buffer_store_dword v17, off, s[44:47], 0 offset:312 ; 4-byte Folded Spill
	buffer_store_dword v18, off, s[44:47], 0 offset:316 ; 4-byte Folded Spill
	v_fma_f64 v[21:22], v[91:92], 2.0, v[17:18]
	v_ashrrev_i32_e32 v18, 31, v25
	v_ashrrev_i32_e32 v17, 31, v12
	v_add_co_ci_u32_e64 v18, null, v19, v18, vcc_lo
	v_add_co_u32 v19, vcc_lo, v20, v12
	v_add_co_ci_u32_e64 v18, null, v18, v17, vcc_lo
	v_add_co_u32 v17, vcc_lo, v19, s29
	v_add_co_ci_u32_e64 v18, null, s34, v18, vcc_lo
	v_lshlrev_b64 v[17:18], 3, v[17:18]
	v_add_co_u32 v17, vcc_lo, s22, v17
	v_add_co_ci_u32_e64 v18, null, s23, v18, vcc_lo
	global_load_dwordx4 v[43:46], v[17:18], off offset:-16
	buffer_store_dword v21, off, s[44:47], 0 offset:500 ; 4-byte Folded Spill
	buffer_store_dword v22, off, s[44:47], 0 offset:504 ; 4-byte Folded Spill
	s_waitcnt vmcnt(0)
	v_mul_f64 v[17:18], v[21:22], v[43:44]
	v_mul_f64 v[19:20], v[43:44], v[17:18]
	v_add_nc_u32_e32 v17, v29, v67
	v_ashrrev_i32_e32 v18, 31, v17
	v_lshlrev_b64 v[17:18], 3, v[17:18]
	v_add_co_u32 v21, vcc_lo, s18, v17
	v_add_co_ci_u32_e64 v22, null, s19, v18, vcc_lo
	v_add_co_u32 v17, vcc_lo, s20, v17
	v_add_co_ci_u32_e64 v18, null, s21, v18, vcc_lo
	global_load_dwordx2 v[106:107], v[21:22], off
	global_load_dwordx2 v[17:18], v[17:18], off
	s_waitcnt vmcnt(0)
	buffer_store_dword v17, off, s[44:47], 0 offset:320 ; 4-byte Folded Spill
	buffer_store_dword v18, off, s[44:47], 0 offset:324 ; 4-byte Folded Spill
	v_fma_f64 v[17:18], v[106:107], 2.0, v[17:18]
	buffer_store_dword v17, off, s[44:47], 0 offset:508 ; 4-byte Folded Spill
	buffer_store_dword v18, off, s[44:47], 0 offset:512 ; 4-byte Folded Spill
	v_mul_f64 v[17:18], v[17:18], v[45:46]
	v_mul_f64 v[21:22], v[45:46], v[17:18]
	v_add_co_u32 v17, vcc_lo, s18, v15
	v_add_co_ci_u32_e64 v18, null, s19, v16, vcc_lo
	v_add_co_u32 v15, vcc_lo, s20, v15
	v_add_co_ci_u32_e64 v16, null, s21, v16, vcc_lo
	global_load_dwordx2 v[31:32], v[17:18], off
	v_add_nc_u32_e32 v18, s36, v14
	global_load_dwordx2 v[15:16], v[15:16], off
	v_add_nc_u32_e32 v119, v25, v18
	v_add3_u32 v49, v11, v18, v12
	v_add_nc_u32_e32 v11, s28, v11
	v_add_nc_u32_e32 v118, v119, v12
	v_mul_f64 v[23:24], v[95:96], v[21:22]
	v_add_nc_u32_e32 v74, v12, v11
	v_add3_u32 v57, v11, v18, v12
	v_add_nc_u32_e32 v25, s29, v118
	v_lshl_add_u32 v11, s28, 1, v11
	v_ashrrev_i32_e32 v124, 31, v118
	v_ashrrev_i32_e32 v26, 31, v25
	v_add_nc_u32_e32 v76, v12, v11
	v_add3_u32 v114, v11, v18, v12
	v_lshlrev_b64 v[37:38], 3, v[25:26]
	v_add_co_u32 v25, vcc_lo, s22, v37
	v_add_co_ci_u32_e64 v26, null, s23, v38, vcc_lo
	s_clause 0x1
	global_load_dwordx2 v[97:98], v[25:26], off offset:16
	global_load_dwordx4 v[87:90], v[25:26], off
	v_add_nc_u32_e32 v25, v29, v72
	v_ashrrev_i32_e32 v26, 31, v25
	v_lshlrev_b64 v[25:26], 3, v[25:26]
	v_add_co_u32 v27, vcc_lo, s18, v25
	v_add_co_ci_u32_e64 v28, null, s19, v26, vcc_lo
	v_add_co_u32 v25, vcc_lo, s20, v25
	v_add_co_ci_u32_e64 v26, null, s21, v26, vcc_lo
	global_load_dwordx2 v[64:65], v[27:28], off
	v_add_co_u32 v35, vcc_lo, s18, v33
	global_load_dwordx2 v[25:26], v[25:26], off
	v_add_co_ci_u32_e64 v36, null, s19, v34, vcc_lo
	v_add_co_u32 v33, vcc_lo, s20, v33
	v_add_co_ci_u32_e64 v34, null, s21, v34, vcc_lo
	s_waitcnt vmcnt(0)
	buffer_store_dword v25, off, s[44:47], 0 offset:384 ; 4-byte Folded Spill
	buffer_store_dword v26, off, s[44:47], 0 offset:388 ; 4-byte Folded Spill
	v_fma_f64 v[15:16], v[31:32], 2.0, v[15:16]
	v_mul_f64 v[15:16], v[15:16], v[87:88]
	v_mul_f64 v[39:40], v[87:88], v[15:16]
	;; [unrolled: 1-line block ×3, first 2 shown]
	v_fma_f64 v[21:22], v[95:96], v[21:22], v[15:16]
	v_fma_f64 v[25:26], v[64:65], 2.0, v[25:26]
	buffer_store_dword v25, off, s[44:47], 0 offset:392 ; 4-byte Folded Spill
	buffer_store_dword v26, off, s[44:47], 0 offset:396 ; 4-byte Folded Spill
	global_load_dwordx2 v[33:34], v[33:34], off
	global_load_dwordx2 v[110:111], v[35:36], off
	v_fma_f64 v[35:36], v[93:94], v[19:20], v[15:16]
	s_waitcnt vmcnt(1)
	buffer_store_dword v33, off, s[44:47], 0 offset:448 ; 4-byte Folded Spill
	buffer_store_dword v34, off, s[44:47], 0 offset:452 ; 4-byte Folded Spill
	v_mul_f64 v[25:26], v[25:26], v[89:90]
	v_fma_f64 v[35:36], 0xbfe80000, v[35:36], v[23:24]
	v_mul_f64 v[25:26], v[89:90], v[25:26]
	v_mul_f64 v[27:28], v[4:5], v[25:26]
	v_fma_f64 v[19:20], v[93:94], v[19:20], v[27:28]
	v_fma_f64 v[19:20], 0x40080000, v[21:22], v[19:20]
	s_waitcnt vmcnt(0)
	v_fma_f64 v[33:34], v[110:111], 2.0, v[33:34]
	buffer_store_dword v33, off, s[44:47], 0 offset:472 ; 4-byte Folded Spill
	buffer_store_dword v34, off, s[44:47], 0 offset:476 ; 4-byte Folded Spill
	v_mul_f64 v[33:34], v[33:34], v[97:98]
	v_mul_f64 v[33:34], v[97:98], v[33:34]
	v_fma_f64 v[21:22], v[62:63], v[33:34], v[23:24]
	v_fma_f64 v[23:24], v[4:5], v[25:26], v[15:16]
	;; [unrolled: 1-line block ×3, first 2 shown]
	v_add_nc_u32_e32 v25, s28, v11
	v_add_nc_u32_e32 v11, v12, v25
	v_add3_u32 v99, v25, v18, v12
	v_add_nc_u32_e32 v12, s29, v99
	v_fma_f64 v[21:22], 0x40080000, v[23:24], v[21:22]
	v_fma_f64 v[23:24], 0xbfe80000, v[14:15], v[27:28]
	v_add_co_u32 v14, vcc_lo, s16, v37
	buffer_store_dword v37, off, s[44:47], 0 offset:248 ; 4-byte Folded Spill
	buffer_store_dword v38, off, s[44:47], 0 offset:252 ; 4-byte Folded Spill
	v_add_co_ci_u32_e64 v15, null, s17, v38, vcc_lo
	s_clause 0x2
	global_load_dwordx2 v[33:34], v[14:15], off offset:16
	global_load_dwordx4 v[26:29], v[14:15], off
	global_load_dwordx4 v[14:17], v[14:15], off offset:-16
	s_waitcnt vmcnt(0)
	v_add_f64 v[16:17], v[16:17], -v[26:27]
	v_add_f64 v[14:15], v[14:15], -v[26:27]
	v_mul_f64 v[16:17], v[19:20], v[16:17]
	v_fma_f64 v[14:15], v[35:36], v[14:15], v[16:17]
	v_add_f64 v[16:17], v[28:29], -v[26:27]
	v_fma_f64 v[14:15], v[21:22], v[16:17], v[14:15]
	v_add_f64 v[16:17], v[33:34], -v[26:27]
	v_mul_f64 v[21:22], v[31:32], v[87:88]
	v_add_nc_u32_e32 v31, v76, v13
	v_add_nc_u32_e32 v33, v11, v13
	v_ashrrev_i32_e32 v32, 31, v31
	v_ashrrev_i32_e32 v34, 31, v33
	v_lshlrev_b64 v[58:59], 3, v[31:32]
	v_lshlrev_b64 v[60:61], 3, v[33:34]
	v_fma_f64 v[14:15], v[23:24], v[16:17], v[14:15]
	v_mul_f64 v[21:22], v[87:88], v[21:22]
	v_mul_f64 v[14:15], v[14:15], s[8:9]
	v_mul_f64 v[23:24], v[6:7], v[21:22]
	v_fma_f64 v[28:29], v[53:54], v[14:15], 0
	v_add_nc_u32_e32 v14, v75, v13
	v_ashrrev_i32_e32 v15, 31, v14
	v_lshlrev_b64 v[47:48], 3, v[14:15]
	v_add_co_u32 v14, vcc_lo, s18, v47
	v_add_co_ci_u32_e64 v15, null, s19, v48, vcc_lo
	global_load_dwordx2 v[85:86], v[14:15], off
	v_add_nc_u32_e32 v14, s29, v49
	v_ashrrev_i32_e32 v15, 31, v14
	v_lshlrev_b64 v[14:15], 3, v[14:15]
	v_add_co_u32 v16, vcc_lo, s22, v14
	v_add_co_ci_u32_e64 v17, null, s23, v15, vcc_lo
	global_load_dwordx2 v[70:71], v[16:17], off
	s_waitcnt vmcnt(0)
	v_mul_f64 v[16:17], v[85:86], v[70:71]
	v_mul_f64 v[37:38], v[70:71], v[16:17]
	v_add_nc_u32_e32 v16, v74, v13
	v_ashrrev_i32_e32 v13, 31, v12
	v_ashrrev_i32_e32 v17, 31, v16
	v_lshlrev_b64 v[12:13], 3, v[12:13]
	v_lshlrev_b64 v[51:52], 3, v[16:17]
	v_add_co_u32 v16, vcc_lo, s18, v51
	v_add_co_ci_u32_e64 v17, null, s19, v52, vcc_lo
	global_load_dwordx2 v[83:84], v[16:17], off
	v_add_nc_u32_e32 v16, s29, v57
	v_ashrrev_i32_e32 v17, 31, v16
	v_lshlrev_b64 v[16:17], 3, v[16:17]
	v_add_co_u32 v19, vcc_lo, s22, v16
	v_add_co_ci_u32_e64 v20, null, s23, v17, vcc_lo
	v_add_co_u32 v31, vcc_lo, s18, v58
	v_add_co_ci_u32_e64 v32, null, s19, v59, vcc_lo
	global_load_dwordx2 v[81:82], v[19:20], off
	global_load_dwordx2 v[104:105], v[31:32], off
	v_add_nc_u32_e32 v31, s29, v114
	v_ashrrev_i32_e32 v32, 31, v31
	v_lshlrev_b64 v[41:42], 3, v[31:32]
	v_add_co_u32 v31, vcc_lo, s22, v41
	v_add_co_ci_u32_e64 v32, null, s23, v42, vcc_lo
	v_add_co_u32 v33, vcc_lo, s18, v60
	v_add_co_ci_u32_e64 v34, null, s19, v61, vcc_lo
	global_load_dwordx2 v[87:88], v[31:32], off
	global_load_dwordx2 v[112:113], v[33:34], off
	v_add_co_u32 v33, vcc_lo, s22, v12
	v_add_co_ci_u32_e64 v34, null, s23, v13, vcc_lo
	v_add_co_u32 v14, vcc_lo, s16, v14
	v_add_co_ci_u32_e64 v15, null, s17, v15, vcc_lo
	global_load_dwordx2 v[108:109], v[33:34], off
	v_add_co_u32 v16, vcc_lo, s16, v16
	v_add_co_ci_u32_e64 v17, null, s17, v17, vcc_lo
	s_waitcnt vmcnt(4)
	v_mul_f64 v[19:20], v[83:84], v[81:82]
	v_mul_f64 v[102:103], v[81:82], v[19:20]
	s_waitcnt vmcnt(2)
	v_mul_f64 v[31:32], v[104:105], v[87:88]
	s_waitcnt vmcnt(0)
	v_mul_f64 v[33:34], v[112:113], v[108:109]
	v_mul_f64 v[19:20], v[79:80], v[102:103]
	;; [unrolled: 1-line block ×4, first 2 shown]
	v_fma_f64 v[33:34], v[77:78], v[37:38], v[23:24]
	buffer_store_dword v37, off, s[44:47], 0 offset:552 ; 4-byte Folded Spill
	buffer_store_dword v38, off, s[44:47], 0 offset:556 ; 4-byte Folded Spill
	;; [unrolled: 1-line block ×4, first 2 shown]
	v_mul_f64 v[31:32], v[8:9], v[115:116]
	buffer_store_dword v115, off, s[44:47], 0 offset:608 ; 4-byte Folded Spill
	buffer_store_dword v116, off, s[44:47], 0 offset:612 ; 4-byte Folded Spill
	v_fma_f64 v[35:36], 0xbfe80000, v[33:34], v[19:20]
	v_fma_f64 v[18:19], v[68:69], v[120:121], v[19:20]
	buffer_store_dword v120, off, s[44:47], 0 offset:616 ; 4-byte Folded Spill
	buffer_store_dword v121, off, s[44:47], 0 offset:620 ; 4-byte Folded Spill
	s_clause 0x1
	global_load_dwordx2 v[14:15], v[14:15], off
	global_load_dwordx2 v[16:17], v[16:17], off
	v_fma_f64 v[33:34], v[77:78], v[37:38], v[31:32]
	v_fma_f64 v[37:38], v[79:80], v[102:103], v[23:24]
	;; [unrolled: 1-line block ×4, first 2 shown]
	s_waitcnt vmcnt(1)
	v_add_f64 v[14:15], v[14:15], -v[26:27]
	s_waitcnt vmcnt(0)
	v_add_f64 v[16:17], v[16:17], -v[26:27]
	v_fma_f64 v[33:34], 0x40080000, v[33:34], v[18:19]
	v_fma_f64 v[18:19], v[68:69], v[120:121], v[23:24]
	v_mul_f64 v[16:17], v[37:38], v[16:17]
	v_fma_f64 v[31:32], 0xbfe80000, v[18:19], v[31:32]
	v_fma_f64 v[14:15], v[35:36], v[14:15], v[16:17]
	v_add_co_u32 v16, vcc_lo, s16, v41
	v_add_co_ci_u32_e64 v17, null, s17, v42, vcc_lo
	v_add_co_u32 v12, vcc_lo, s16, v12
	v_add_co_ci_u32_e64 v13, null, s17, v13, vcc_lo
	global_load_dwordx2 v[16:17], v[16:17], off
	v_mov_b32_e32 v18, v89
	v_mov_b32_e32 v19, v90
	global_load_dwordx2 v[12:13], v[12:13], off
	buffer_store_dword v91, off, s[44:47], 0 offset:400 ; 4-byte Folded Spill
	buffer_store_dword v92, off, s[44:47], 0 offset:404 ; 4-byte Folded Spill
	;; [unrolled: 1-line block ×4, first 2 shown]
	s_waitcnt vmcnt(1)
	v_add_f64 v[16:17], v[16:17], -v[26:27]
	s_waitcnt vmcnt(0)
	v_add_f64 v[12:13], v[12:13], -v[26:27]
	v_fma_f64 v[14:15], v[33:34], v[16:17], v[14:15]
	v_fma_f64 v[12:13], v[31:32], v[12:13], v[14:15]
	v_mul_f64 v[14:15], v[2:3], v[21:22]
	v_mul_f64 v[12:13], v[12:13], s[8:9]
	v_fma_f64 v[102:103], v[55:56], v[12:13], v[28:29]
	v_mul_f64 v[12:13], v[91:92], v[43:44]
	v_mul_f64 v[27:28], v[43:44], v[12:13]
	v_mul_f64 v[12:13], v[106:107], v[45:46]
	buffer_store_dword v43, off, s[44:47], 0 offset:280 ; 4-byte Folded Spill
	buffer_store_dword v44, off, s[44:47], 0 offset:284 ; 4-byte Folded Spill
	;; [unrolled: 1-line block ×6, first 2 shown]
	v_mul_f64 v[23:24], v[45:46], v[12:13]
	v_mul_f64 v[16:17], v[64:65], v[89:90]
	buffer_store_dword v16, off, s[44:47], 0 offset:352 ; 4-byte Folded Spill
	buffer_store_dword v17, off, s[44:47], 0 offset:356 ; 4-byte Folded Spill
	;; [unrolled: 1-line block ×6, first 2 shown]
	v_mul_f64 v[12:13], v[95:96], v[23:24]
	v_add_nc_u32_e32 v64, s37, v118
	v_ashrrev_i32_e32 v65, 31, v64
	v_lshlrev_b64 v[125:126], 3, v[64:65]
	v_mul_f64 v[25:26], v[89:90], v[16:17]
	v_mul_f64 v[18:19], v[110:111], v[97:98]
	buffer_store_dword v97, off, s[44:47], 0 offset:432 ; 4-byte Folded Spill
	buffer_store_dword v98, off, s[44:47], 0 offset:436 ; 4-byte Folded Spill
	v_mul_f64 v[16:17], v[4:5], v[25:26]
	v_mul_f64 v[45:46], v[97:98], v[18:19]
	v_fma_f64 v[18:19], v[93:94], v[27:28], v[14:15]
	buffer_store_dword v27, off, s[44:47], 0 offset:560 ; 4-byte Folded Spill
	buffer_store_dword v28, off, s[44:47], 0 offset:564 ; 4-byte Folded Spill
	v_fma_f64 v[18:19], 0xbfe80000, v[18:19], v[12:13]
	v_fma_f64 v[12:13], v[62:63], v[45:46], v[12:13]
	;; [unrolled: 1-line block ×3, first 2 shown]
	buffer_store_dword v93, off, s[44:47], 0 offset:416 ; 4-byte Folded Spill
	buffer_store_dword v94, off, s[44:47], 0 offset:420 ; 4-byte Folded Spill
	;; [unrolled: 1-line block ×12, first 2 shown]
	v_fma_f64 v[22:23], v[95:96], v[23:24], v[14:15]
	v_fma_f64 v[41:42], 0x40080000, v[22:23], v[20:21]
	;; [unrolled: 1-line block ×6, first 2 shown]
	v_add_co_u32 v12, vcc_lo, v118, s37
	v_add_co_ci_u32_e64 v13, null, s38, v124, vcc_lo
	v_lshlrev_b64 v[12:13], 3, v[12:13]
	v_add_co_u32 v12, vcc_lo, s16, v12
	v_add_co_ci_u32_e64 v13, null, s17, v13, vcc_lo
	v_add_co_u32 v20, vcc_lo, s16, v125
	v_add_co_ci_u32_e64 v21, null, s17, v126, vcc_lo
	s_clause 0x2
	global_load_dwordx2 v[16:17], v[12:13], off offset:-16
	global_load_dwordx4 v[12:15], v[20:21], off offset:8
	global_load_dwordx4 v[26:29], v[20:21], off offset:-8
	s_waitcnt vmcnt(0)
	v_add_f64 v[20:21], v[26:27], -v[28:29]
	v_add_f64 v[16:17], v[16:17], -v[28:29]
	;; [unrolled: 1-line block ×4, first 2 shown]
	v_mul_f64 v[20:21], v[41:42], v[20:21]
	v_fma_f64 v[16:17], v[18:19], v[16:17], v[20:21]
	v_mul_f64 v[20:21], v[6:7], v[39:40]
	v_fma_f64 v[12:13], v[43:44], v[12:13], v[16:17]
	v_fma_f64 v[12:13], v[45:46], v[14:15], v[12:13]
	v_mul_f64 v[12:13], v[12:13], s[8:9]
	v_fma_f64 v[26:27], v[53:54], v[12:13], 0
	v_add_co_u32 v12, vcc_lo, s20, v47
	v_add_co_ci_u32_e64 v13, null, s21, v48, vcc_lo
	v_add_co_u32 v14, vcc_lo, s20, v51
	v_add_co_ci_u32_e64 v15, null, s21, v52, vcc_lo
	global_load_dwordx2 v[12:13], v[12:13], off
	v_add_co_u32 v22, vcc_lo, s20, v58
	v_add_co_ci_u32_e64 v23, null, s21, v59, vcc_lo
	v_add_co_u32 v39, vcc_lo, s20, v60
	v_add_co_ci_u32_e64 v40, null, s21, v61, vcc_lo
	v_add_nc_u32_e32 v58, s37, v49
	v_add_nc_u32_e32 v51, s37, v57
	buffer_store_dword v85, off, s[44:47], 0 offset:344 ; 4-byte Folded Spill
	buffer_store_dword v86, off, s[44:47], 0 offset:348 ; 4-byte Folded Spill
	s_waitcnt vmcnt(0)
	buffer_store_dword v12, off, s[44:47], 0 offset:32 ; 4-byte Folded Spill
	buffer_store_dword v13, off, s[44:47], 0 offset:36 ; 4-byte Folded Spill
	v_ashrrev_i32_e32 v59, 31, v58
	v_ashrrev_i32_e32 v52, 31, v51
	v_fma_f64 v[12:13], v[85:86], 2.0, v[12:13]
	buffer_store_dword v12, off, s[44:47], 0 offset:600 ; 4-byte Folded Spill
	buffer_store_dword v13, off, s[44:47], 0 offset:604 ; 4-byte Folded Spill
	v_mul_f64 v[12:13], v[70:71], v[12:13]
	buffer_store_dword v70, off, s[44:47], 0 ; 4-byte Folded Spill
	buffer_store_dword v71, off, s[44:47], 0 offset:4 ; 4-byte Folded Spill
	global_load_dwordx2 v[14:15], v[14:15], off
	buffer_store_dword v83, off, s[44:47], 0 offset:336 ; 4-byte Folded Spill
	buffer_store_dword v84, off, s[44:47], 0 offset:340 ; 4-byte Folded Spill
	s_waitcnt vmcnt(0)
	buffer_store_dword v14, off, s[44:47], 0 offset:24 ; 4-byte Folded Spill
	buffer_store_dword v15, off, s[44:47], 0 offset:28 ; 4-byte Folded Spill
	v_mul_f64 v[12:13], v[70:71], v[12:13]
	v_fma_f64 v[47:48], v[77:78], v[12:13], v[20:21]
	v_fma_f64 v[14:15], v[83:84], 2.0, v[14:15]
	buffer_store_dword v14, off, s[44:47], 0 offset:592 ; 4-byte Folded Spill
	buffer_store_dword v15, off, s[44:47], 0 offset:596 ; 4-byte Folded Spill
	v_mul_f64 v[14:15], v[81:82], v[14:15]
	buffer_store_dword v81, off, s[44:47], 0 offset:328 ; 4-byte Folded Spill
	buffer_store_dword v82, off, s[44:47], 0 offset:332 ; 4-byte Folded Spill
	global_load_dwordx2 v[22:23], v[22:23], off
	buffer_store_dword v104, off, s[44:47], 0 offset:440 ; 4-byte Folded Spill
	buffer_store_dword v105, off, s[44:47], 0 offset:444 ; 4-byte Folded Spill
	s_waitcnt vmcnt(0)
	buffer_store_dword v22, off, s[44:47], 0 offset:40 ; 4-byte Folded Spill
	buffer_store_dword v23, off, s[44:47], 0 offset:44 ; 4-byte Folded Spill
	v_mul_f64 v[14:15], v[81:82], v[14:15]
	v_mul_f64 v[16:17], v[79:80], v[14:15]
	v_fma_f64 v[47:48], 0xbfe80000, v[47:48], v[16:17]
	v_fma_f64 v[22:23], v[104:105], 2.0, v[22:23]
	buffer_store_dword v22, off, s[44:47], 0 offset:528 ; 4-byte Folded Spill
	buffer_store_dword v23, off, s[44:47], 0 offset:532 ; 4-byte Folded Spill
	v_mul_f64 v[22:23], v[87:88], v[22:23]
	buffer_store_dword v87, off, s[44:47], 0 offset:8 ; 4-byte Folded Spill
	buffer_store_dword v88, off, s[44:47], 0 offset:12 ; 4-byte Folded Spill
	global_load_dwordx2 v[39:40], v[39:40], off
	buffer_store_dword v112, off, s[44:47], 0 offset:484 ; 4-byte Folded Spill
	buffer_store_dword v113, off, s[44:47], 0 offset:488 ; 4-byte Folded Spill
	s_waitcnt vmcnt(0)
	buffer_store_dword v39, off, s[44:47], 0 offset:48 ; 4-byte Folded Spill
	buffer_store_dword v40, off, s[44:47], 0 offset:52 ; 4-byte Folded Spill
	v_mul_f64 v[22:23], v[87:88], v[22:23]
	v_mul_f64 v[24:25], v[8:9], v[22:23]
	v_fma_f64 v[12:13], v[77:78], v[12:13], v[24:25]
	v_fma_f64 v[39:40], v[112:113], 2.0, v[39:40]
	buffer_store_dword v39, off, s[44:47], 0 offset:584 ; 4-byte Folded Spill
	buffer_store_dword v40, off, s[44:47], 0 offset:588 ; 4-byte Folded Spill
	v_mul_f64 v[39:40], v[108:109], v[39:40]
	buffer_store_dword v108, off, s[44:47], 0 offset:16 ; 4-byte Folded Spill
	buffer_store_dword v109, off, s[44:47], 0 offset:20 ; 4-byte Folded Spill
	;; [unrolled: 1-line block ×6, first 2 shown]
	v_fma_f64 v[14:15], v[79:80], v[14:15], v[20:21]
	v_mul_f64 v[39:40], v[108:109], v[39:40]
	v_fma_f64 v[12:13], 0x40080000, v[14:15], v[12:13]
	v_fma_f64 v[14:15], v[68:69], v[39:40], v[16:17]
	buffer_store_dword v68, off, s[44:47], 0 offset:256 ; 4-byte Folded Spill
	buffer_store_dword v69, off, s[44:47], 0 offset:260 ; 4-byte Folded Spill
	v_fma_f64 v[16:17], v[8:9], v[22:23], v[20:21]
	buffer_store_dword v49, off, s[44:47], 0 offset:480 ; 4-byte Folded Spill
	v_fma_f64 v[14:15], 0x40080000, v[16:17], v[14:15]
	v_fma_f64 v[16:17], v[68:69], v[39:40], v[20:21]
	v_lshlrev_b64 v[21:22], 3, v[58:59]
	v_add_nc_u32_e32 v39, s37, v99
	v_add_co_u32 v20, vcc_lo, s16, v21
	buffer_store_dword v21, off, s[44:47], 0 offset:640 ; 4-byte Folded Spill
	buffer_store_dword v22, off, s[44:47], 0 offset:644 ; 4-byte Folded Spill
	;; [unrolled: 1-line block ×3, first 2 shown]
	v_ashrrev_i32_e32 v40, 31, v39
	v_fma_f64 v[16:17], 0xbfe80000, v[16:17], v[24:25]
	v_lshlrev_b64 v[23:24], 3, v[51:52]
	v_add_co_ci_u32_e64 v21, null, s17, v22, vcc_lo
	v_add_co_u32 v22, vcc_lo, s16, v23
	global_load_dwordx2 v[20:21], v[20:21], off
	buffer_store_dword v23, off, s[44:47], 0 offset:648 ; 4-byte Folded Spill
	buffer_store_dword v24, off, s[44:47], 0 offset:652 ; 4-byte Folded Spill
	;; [unrolled: 1-line block ×3, first 2 shown]
	v_add_co_ci_u32_e64 v23, null, s17, v24, vcc_lo
	s_waitcnt vmcnt(0)
	v_add_f64 v[20:21], v[20:21], -v[28:29]
	global_load_dwordx2 v[22:23], v[22:23], off
	s_waitcnt vmcnt(0)
	v_add_f64 v[22:23], v[22:23], -v[28:29]
	v_mul_f64 v[12:13], v[22:23], v[12:13]
	v_fma_f64 v[12:13], v[20:21], v[47:48], v[12:13]
	v_add_nc_u32_e32 v47, s37, v114
	v_ashrrev_i32_e32 v48, 31, v47
	v_lshlrev_b64 v[21:22], 3, v[47:48]
	v_add_co_u32 v20, vcc_lo, s16, v21
	buffer_store_dword v21, off, s[44:47], 0 offset:624 ; 4-byte Folded Spill
	buffer_store_dword v22, off, s[44:47], 0 offset:628 ; 4-byte Folded Spill
	;; [unrolled: 1-line block ×3, first 2 shown]
	v_add_co_ci_u32_e64 v21, null, s17, v22, vcc_lo
	global_load_dwordx2 v[20:21], v[20:21], off
	s_waitcnt vmcnt(0)
	v_add_f64 v[20:21], v[20:21], -v[28:29]
	v_fma_f64 v[12:13], v[20:21], v[14:15], v[12:13]
	v_lshlrev_b64 v[20:21], 3, v[39:40]
	v_add_co_u32 v14, vcc_lo, s16, v20
	buffer_store_dword v20, off, s[44:47], 0 offset:632 ; 4-byte Folded Spill
	buffer_store_dword v21, off, s[44:47], 0 offset:636 ; 4-byte Folded Spill
	v_add_co_ci_u32_e64 v15, null, s17, v21, vcc_lo
	global_load_dwordx2 v[14:15], v[14:15], off
	s_waitcnt vmcnt(0)
	v_add_f64 v[14:15], v[14:15], -v[28:29]
	v_fma_f64 v[12:13], v[14:15], v[16:17], v[12:13]
	v_mul_f64 v[12:13], v[12:13], s[8:9]
	v_fma_f64 v[77:78], v[55:56], v[12:13], v[26:27]
	v_add_co_u32 v12, vcc_lo, v118, s39
	v_add_co_ci_u32_e64 v13, null, s40, v124, vcc_lo
	v_lshlrev_b64 v[12:13], 3, v[12:13]
	v_add_co_u32 v12, vcc_lo, s16, v12
	v_add_co_ci_u32_e64 v13, null, s17, v13, vcc_lo
	global_load_dwordx2 v[48:49], v[12:13], off offset:-16
	v_add_nc_u32_e32 v12, s29, v64
	v_ashrrev_i32_e32 v13, 31, v12
	v_lshlrev_b64 v[62:63], 3, v[12:13]
	v_add_co_u32 v16, vcc_lo, s16, v62
	v_add_co_ci_u32_e64 v17, null, s17, v63, vcc_lo
	s_clause 0x1
	global_load_dwordx4 v[12:15], v[16:17], off offset:8
	global_load_dwordx4 v[26:29], v[16:17], off offset:-8
	s_waitcnt vmcnt(0)
	v_add_f64 v[20:21], v[26:27], -v[28:29]
	v_add_f64 v[16:17], v[48:49], -v[28:29]
	;; [unrolled: 1-line block ×4, first 2 shown]
	v_mul_f64 v[20:21], v[41:42], v[20:21]
	v_fma_f64 v[16:17], v[18:19], v[16:17], v[20:21]
	v_fma_f64 v[12:13], v[43:44], v[12:13], v[16:17]
	;; [unrolled: 1-line block ×3, first 2 shown]
	v_mul_f64 v[12:13], v[12:13], s[8:9]
	v_fma_f64 v[18:19], v[53:54], v[12:13], 0
	v_add_nc_u32_e32 v12, s29, v58
	v_ashrrev_i32_e32 v13, 31, v12
	v_lshlrev_b64 v[13:14], 3, v[12:13]
	v_add_co_u32 v12, vcc_lo, s16, v13
	buffer_store_dword v13, off, s[44:47], 0 offset:656 ; 4-byte Folded Spill
	buffer_store_dword v14, off, s[44:47], 0 offset:660 ; 4-byte Folded Spill
	v_add_co_ci_u32_e64 v13, null, s17, v14, vcc_lo
	v_add_nc_u32_e32 v14, s29, v51
	global_load_dwordx2 v[12:13], v[12:13], off
	v_ashrrev_i32_e32 v15, 31, v14
	v_lshlrev_b64 v[15:16], 3, v[14:15]
	v_add_co_u32 v14, vcc_lo, s16, v15
	buffer_store_dword v15, off, s[44:47], 0 offset:672 ; 4-byte Folded Spill
	buffer_store_dword v16, off, s[44:47], 0 offset:676 ; 4-byte Folded Spill
	s_waitcnt vmcnt(0)
	v_add_f64 v[12:13], v[12:13], -v[28:29]
	v_add_co_ci_u32_e64 v15, null, s17, v16, vcc_lo
	global_load_dwordx2 v[14:15], v[14:15], off
	s_waitcnt vmcnt(0)
	v_add_f64 v[14:15], v[14:15], -v[28:29]
	v_mul_f64 v[14:15], v[37:38], v[14:15]
	v_fma_f64 v[12:13], v[35:36], v[12:13], v[14:15]
	v_add_nc_u32_e32 v14, s29, v47
	v_ashrrev_i32_e32 v15, 31, v14
	v_lshlrev_b64 v[15:16], 3, v[14:15]
	v_add_co_u32 v14, vcc_lo, s16, v15
	buffer_store_dword v15, off, s[44:47], 0 offset:664 ; 4-byte Folded Spill
	buffer_store_dword v16, off, s[44:47], 0 offset:668 ; 4-byte Folded Spill
	v_add_co_ci_u32_e64 v15, null, s17, v16, vcc_lo
	global_load_dwordx2 v[14:15], v[14:15], off
	s_waitcnt vmcnt(0)
	v_add_f64 v[14:15], v[14:15], -v[28:29]
	v_fma_f64 v[26:27], v[33:34], v[14:15], v[12:13]
	v_add_nc_u32_e32 v12, s29, v39
	v_ashrrev_i32_e32 v13, 31, v12
	v_lshlrev_b64 v[13:14], 3, v[12:13]
	v_add_co_u32 v12, vcc_lo, s16, v13
	buffer_store_dword v13, off, s[44:47], 0 offset:680 ; 4-byte Folded Spill
	buffer_store_dword v14, off, s[44:47], 0 offset:684 ; 4-byte Folded Spill
	v_add_co_ci_u32_e64 v13, null, s17, v14, vcc_lo
	global_load_dwordx2 v[12:13], v[12:13], off
	s_waitcnt vmcnt(0)
	v_add_f64 v[28:29], v[12:13], -v[28:29]
	v_fma_f64 v[12:13], v[31:32], v[28:29], v[26:27]
	v_mul_f64 v[12:13], v[12:13], s[8:9]
	s_lshl_b32 s9, s2, 1
	s_sub_i32 s8, 0, s30
	s_sub_i32 s9, s3, s9
	s_add_i32 s9, s9, 1
	v_mad_u64_u32 v[80:81], null, s41, s9, v[1:2]
	s_mul_i32 s9, s2, 3
	s_sub_i32 s1, s1, s9
	s_add_i32 s1, s1, 2
	v_mad_u64_u32 v[70:71], null, s1, s41, v[1:2]
	s_mul_i32 s1, s3, 3
	s_lshl_b32 s3, s2, 2
	s_sub_i32 s1, s1, s3
	v_fma_f64 v[68:69], v[55:56], v[12:13], v[18:19]
	v_add_nc_u32_e32 v12, s27, v10
	v_subrev_nc_u32_e32 v10, s0, v80
	s_add_i32 s1, s1, 3
	v_mad_u64_u32 v[13:14], null, s1, s41, v[1:2]
	v_mul_lo_u32 v10, s28, v10
	s_mul_i32 s1, s2, s41
	v_add3_u32 v49, v10, s28, v12
	v_subrev_nc_u32_e32 v10, s0, v70
	v_mul_lo_u32 v10, s28, v10
	v_add3_u32 v60, v10, s28, v12
	v_subrev_nc_u32_e32 v10, s0, v13
	v_add_nc_u32_e32 v13, -1, v50
	v_mul_lo_u32 v10, s28, v10
	v_add3_u32 v61, v10, s28, v12
	v_subrev_nc_u32_e32 v10, s1, v1
	v_subrev_nc_u32_e32 v10, s0, v10
	v_mul_lo_u32 v10, s28, v10
	v_add3_u32 v57, v10, s28, v12
.LBB0_2:                                ; =>This Loop Header: Depth=1
                                        ;     Child Loop BB0_3 Depth 2
	v_mov_b32_e32 v18, 0
	v_mov_b32_e32 v28, 0
	v_mov_b32_e32 v26, 0
	v_mov_b32_e32 v33, 0
	v_mov_b32_e32 v31, 0
	v_mov_b32_e32 v35, 0
	v_mov_b32_e32 v19, 0
	v_add_nc_u32_e32 v14, s33, v57
	v_add_nc_u32_e32 v15, s33, v61
	;; [unrolled: 1-line block ×3, first 2 shown]
	v_mov_b32_e32 v29, 0
	v_mov_b32_e32 v27, 0
	v_mov_b32_e32 v34, 0
	v_mov_b32_e32 v32, 0
	v_mov_b32_e32 v36, 0
	v_add_nc_u32_e32 v17, s33, v49
	s_mov_b32 s2, 0
.LBB0_3:                                ;   Parent Loop BB0_2 Depth=1
                                        ; =>  This Inner Loop Header: Depth=2
	v_add_nc_u32_e32 v20, s2, v13
	s_add_i32 s2, s2, 48
	s_cmpk_eq_i32 s2, 0x180
	v_ashrrev_i32_e32 v21, 31, v20
	v_lshlrev_b64 v[20:21], 3, v[20:21]
	v_add_co_u32 v20, vcc_lo, s12, v20
	v_add_co_ci_u32_e64 v21, null, s13, v21, vcc_lo
	global_load_dwordx2 v[39:40], v[20:21], off
	v_add_nc_u32_e32 v20, s8, v14
	v_add_nc_u32_e32 v14, s25, v14
	v_ashrrev_i32_e32 v21, 31, v20
	v_lshlrev_b64 v[20:21], 3, v[20:21]
	v_add_co_u32 v22, vcc_lo, s18, v20
	v_add_co_ci_u32_e64 v23, null, s19, v21, vcc_lo
	v_add_co_u32 v20, vcc_lo, s20, v20
	v_add_co_ci_u32_e64 v21, null, s21, v21, vcc_lo
	global_load_dwordx2 v[41:42], v[22:23], off
	v_add_nc_u32_e32 v22, s8, v15
	v_add_nc_u32_e32 v15, s25, v15
	global_load_dwordx2 v[43:44], v[20:21], off
	v_add_nc_u32_e32 v20, s8, v17
	v_add_nc_u32_e32 v17, s25, v17
	v_ashrrev_i32_e32 v23, 31, v22
	v_ashrrev_i32_e32 v21, 31, v20
	v_lshlrev_b64 v[22:23], 3, v[22:23]
	v_lshlrev_b64 v[20:21], 3, v[20:21]
	v_add_co_u32 v20, vcc_lo, s22, v20
	v_add_co_ci_u32_e64 v21, null, s23, v21, vcc_lo
	global_load_dwordx2 v[37:38], v[20:21], off
	s_waitcnt vmcnt(1)
	v_fma_f64 v[45:46], v[41:42], 2.0, v[43:44]
	s_waitcnt vmcnt(0)
	v_mul_f64 v[20:21], v[45:46], v[37:38]
	v_mul_f64 v[20:21], v[2:3], v[20:21]
	;; [unrolled: 1-line block ×3, first 2 shown]
	v_add_nc_u32_e32 v20, s8, v16
	v_add_nc_u32_e32 v16, s25, v16
	v_ashrrev_i32_e32 v21, 31, v20
	v_lshlrev_b64 v[20:21], 3, v[20:21]
	v_add_co_u32 v20, vcc_lo, s22, v20
	v_add_co_ci_u32_e64 v21, null, s23, v21, vcc_lo
	v_add_co_u32 v22, vcc_lo, s22, v22
	v_add_co_ci_u32_e64 v23, null, s23, v23, vcc_lo
	s_clause 0x1
	global_load_dwordx2 v[47:48], v[20:21], off
	global_load_dwordx2 v[22:23], v[22:23], off
	s_waitcnt vmcnt(1)
	v_mul_f64 v[20:21], v[6:7], v[47:48]
	s_waitcnt vmcnt(0)
	v_mul_f64 v[24:25], v[22:23], v[22:23]
	v_mul_f64 v[20:21], v[47:48], v[20:21]
	;; [unrolled: 1-line block ×3, first 2 shown]
	v_fma_f64 v[58:59], v[22:23], v[22:23], v[20:21]
	v_mul_f64 v[58:59], v[41:42], v[58:59]
	v_fma_f64 v[51:52], v[2:3], v[51:52], v[58:59]
	v_mul_f64 v[58:59], v[2:3], v[37:38]
	;; [unrolled: 2-line block ×3, first 2 shown]
	v_mul_f64 v[58:59], v[37:38], v[58:59]
	v_mul_f64 v[51:52], v[6:7], v[51:52]
	v_fma_f64 v[24:25], v[2:3], v[58:59], v[24:25]
	v_fma_f64 v[20:21], v[2:3], v[58:59], v[20:21]
	v_mul_f64 v[51:52], v[47:48], v[51:52]
	v_mul_f64 v[24:25], v[41:42], v[24:25]
	;; [unrolled: 1-line block ×3, first 2 shown]
	v_fma_f64 v[24:25], v[6:7], v[51:52], v[24:25]
	v_fma_f64 v[28:29], v[39:40], v[24:25], v[28:29]
	v_mul_f64 v[24:25], v[45:46], v[22:23]
	v_fma_f64 v[20:21], v[22:23], v[24:25], v[20:21]
	v_fma_f64 v[18:19], v[39:40], v[20:21], v[18:19]
	v_add_f64 v[20:21], v[41:42], v[43:44]
	v_mul_f64 v[20:21], v[39:40], v[20:21]
	v_mul_f64 v[24:25], v[37:38], v[20:21]
	;; [unrolled: 1-line block ×3, first 2 shown]
	v_fma_f64 v[31:32], v[47:48], v[24:25], v[31:32]
	v_fma_f64 v[33:34], v[24:25], v[22:23], v[33:34]
	;; [unrolled: 1-line block ×3, first 2 shown]
	s_cbranch_scc0 .LBB0_3
; %bb.4:                                ;   in Loop: Header=BB0_2 Depth=1
	v_mad_u64_u32 v[16:17], null, s35, s25, v[30:31]
	v_mul_f64 v[14:15], v[100:101], v[35:36]
	v_mul_f64 v[26:27], v[55:56], v[26:27]
	;; [unrolled: 1-line block ×3, first 2 shown]
	v_add_nc_u32_e32 v13, 6, v13
	s_add_i32 s35, s35, 1
	s_cmp_eq_u32 s35, 9
	v_ashrrev_i32_e32 v17, 31, v16
	v_lshlrev_b64 v[20:21], 3, v[16:17]
	v_add_nc_u32_e32 v16, s29, v16
	v_ashrrev_i32_e32 v17, 31, v16
	v_add_co_u32 v20, vcc_lo, s16, v20
	v_add_co_ci_u32_e64 v21, null, s17, v21, vcc_lo
	v_lshlrev_b64 v[22:23], 3, v[16:17]
	v_add_nc_u32_e32 v16, s29, v16
	global_load_dwordx2 v[20:21], v[20:21], off
	v_add_co_u32 v22, vcc_lo, s16, v22
	v_add_co_ci_u32_e64 v23, null, s17, v23, vcc_lo
	v_ashrrev_i32_e32 v17, 31, v16
	global_load_dwordx2 v[22:23], v[22:23], off
	v_lshlrev_b64 v[16:17], 3, v[16:17]
	v_add_co_u32 v16, vcc_lo, s16, v16
	v_add_co_ci_u32_e64 v17, null, s17, v17, vcc_lo
	global_load_dwordx2 v[16:17], v[16:17], off
	s_waitcnt vmcnt(1)
	v_mul_f64 v[24:25], v[31:32], v[22:23]
	v_fma_f64 v[14:15], v[14:15], v[20:21], v[24:25]
	v_mul_f64 v[24:25], v[53:54], v[33:34]
	s_waitcnt vmcnt(0)
	v_fma_f64 v[14:15], v[24:25], v[16:17], v[14:15]
	v_add_f64 v[102:103], v[102:103], v[14:15]
	v_mul_f64 v[14:15], v[100:101], v[28:29]
	v_mul_f64 v[14:15], v[14:15], v[22:23]
	v_fma_f64 v[14:15], v[31:32], v[20:21], v[14:15]
	v_fma_f64 v[14:15], v[26:27], v[16:17], v[14:15]
	v_add_f64 v[77:78], v[77:78], v[14:15]
	v_mul_f64 v[14:15], v[26:27], v[22:23]
	v_fma_f64 v[14:15], v[24:25], v[20:21], v[14:15]
	v_fma_f64 v[14:15], v[18:19], v[16:17], v[14:15]
	v_add_f64 v[68:69], v[68:69], v[14:15]
	s_cbranch_scc0 .LBB0_2
; %bb.5:
	v_ashrrev_i32_e32 v51, 31, v50
	v_add_nc_u32_e32 v17, s25, v30
	v_add3_u32 v21, s37, s25, v119
	v_add_nc_u32_e32 v16, s36, v73
	v_add_nc_u32_e32 v15, s36, v66
	v_lshlrev_b64 v[19:20], 3, v[50:51]
	v_ashrrev_i32_e32 v18, 31, v17
	v_ashrrev_i32_e32 v22, 31, v21
	v_add_nc_u32_e32 v14, s36, v72
	v_add_nc_u32_e32 v13, s36, v67
	buffer_store_dword v77, off, s[44:47], 0 offset:876 ; 4-byte Folded Spill
	buffer_store_dword v78, off, s[44:47], 0 offset:880 ; 4-byte Folded Spill
	;; [unrolled: 1-line block ×5, first 2 shown]
	v_lshlrev_b64 v[23:24], 3, v[17:18]
	v_add_co_u32 v18, vcc_lo, s6, v19
	v_add_co_ci_u32_e64 v19, null, s7, v20, vcc_lo
	v_add_nc_u32_e32 v20, s29, v21
	v_add_co_u32 v26, vcc_lo, s18, v23
	v_lshlrev_b64 v[30:31], 3, v[21:22]
	v_add_co_ci_u32_e64 v27, null, s19, v24, vcc_lo
	v_add_nc_u32_e32 v22, s29, v20
	v_add_co_u32 v28, vcc_lo, s20, v23
	v_ashrrev_i32_e32 v21, 31, v20
	v_add_co_ci_u32_e64 v29, null, s21, v24, vcc_lo
	v_add_nc_u32_e32 v24, s29, v119
	v_ashrrev_i32_e32 v23, 31, v22
	v_lshlrev_b64 v[20:21], 3, v[20:21]
	v_add_co_u32 v30, vcc_lo, s22, v30
	v_add_nc_u32_e32 v36, s29, v24
	v_lshlrev_b64 v[22:23], 3, v[22:23]
	v_ashrrev_i32_e32 v25, 31, v24
	v_add_co_ci_u32_e64 v31, null, s23, v31, vcc_lo
	v_add_co_u32 v32, vcc_lo, s22, v20
	v_ashrrev_i32_e32 v37, 31, v36
	v_add_co_ci_u32_e64 v33, null, s23, v21, vcc_lo
	v_lshlrev_b64 v[20:21], 3, v[24:25]
	v_add_nc_u32_e32 v24, s29, v36
	v_add_co_u32 v34, vcc_lo, s22, v22
	v_add_co_ci_u32_e64 v35, null, s23, v23, vcc_lo
	v_lshlrev_b64 v[22:23], 3, v[36:37]
	v_add_nc_u32_e32 v17, v11, v16
	v_ashrrev_i32_e32 v25, 31, v24
	v_add_co_u32 v36, vcc_lo, s16, v20
	v_add_nc_u32_e32 v20, v11, v15
	v_add_co_ci_u32_e64 v37, null, s17, v21, vcc_lo
	v_add_nc_u32_e32 v42, s37, v17
	v_add_co_u32 v38, vcc_lo, s16, v22
	v_lshlrev_b64 v[24:25], 3, v[24:25]
	v_add_co_ci_u32_e64 v39, null, s17, v23, vcc_lo
	v_add_nc_u32_e32 v23, s37, v20
	v_add_nc_u32_e32 v21, v11, v14
	v_ashrrev_i32_e32 v43, 31, v42
	v_add_nc_u32_e32 v11, v11, v13
	v_add_co_u32 v40, vcc_lo, s16, v24
	v_ashrrev_i32_e32 v24, 31, v23
	v_add_nc_u32_e32 v22, v75, v16
	v_add_nc_u32_e32 v46, s37, v21
	v_lshlrev_b64 v[42:43], 3, v[42:43]
	v_add_nc_u32_e32 v48, s37, v11
	v_add_co_ci_u32_e64 v41, null, s17, v25, vcc_lo
	v_lshlrev_b64 v[24:25], 3, v[23:24]
	v_add_nc_u32_e32 v51, s37, v22
	v_ashrrev_i32_e32 v47, 31, v46
	v_ashrrev_i32_e32 v49, 31, v48
	v_add_co_u32 v42, vcc_lo, s16, v42
	v_add_nc_u32_e32 v23, v75, v15
	v_ashrrev_i32_e32 v52, 31, v51
	v_add_co_ci_u32_e64 v43, null, s17, v43, vcc_lo
	v_add_co_u32 v44, vcc_lo, s16, v24
	v_lshlrev_b64 v[46:47], 3, v[46:47]
	v_add_nc_u32_e32 v24, v75, v14
	v_add_co_ci_u32_e64 v45, null, s17, v25, vcc_lo
	v_lshlrev_b64 v[48:49], 3, v[48:49]
	v_add_nc_u32_e32 v25, v75, v13
	v_add_nc_u32_e32 v58, s37, v23
	v_lshlrev_b64 v[51:52], 3, v[51:52]
	v_add_nc_u32_e32 v64, s37, v24
	v_add_co_u32 v46, vcc_lo, s16, v46
	v_add_nc_u32_e32 v66, s37, v25
	v_add_co_ci_u32_e64 v47, null, s17, v47, vcc_lo
	v_ashrrev_i32_e32 v59, 31, v58
	v_add_co_u32 v48, vcc_lo, s16, v48
	v_add_co_ci_u32_e64 v49, null, s17, v49, vcc_lo
	v_ashrrev_i32_e32 v65, 31, v64
	v_add_co_u32 v60, vcc_lo, s16, v51
	v_add_nc_u32_e32 v51, v76, v16
	v_ashrrev_i32_e32 v67, 31, v66
	v_lshlrev_b64 v[58:59], 3, v[58:59]
	v_lshlrev_b64 v[71:72], 3, v[64:65]
	v_add_co_ci_u32_e64 v61, null, s17, v52, vcc_lo
	v_add_nc_u32_e32 v81, s37, v51
	v_lshlrev_b64 v[77:78], 3, v[66:67]
	v_add_nc_u32_e32 v52, v76, v15
	v_add_co_u32 v64, vcc_lo, s16, v58
	v_ashrrev_i32_e32 v82, 31, v81
	v_add_nc_u32_e32 v58, v76, v14
	v_add_co_ci_u32_e64 v65, null, s17, v59, vcc_lo
	v_add_co_u32 v66, vcc_lo, s16, v71
	v_add_co_ci_u32_e64 v67, null, s17, v72, vcc_lo
	v_add_nc_u32_e32 v86, s37, v52
	v_add_co_u32 v71, vcc_lo, s16, v77
	v_add_co_ci_u32_e64 v72, null, s17, v78, vcc_lo
	v_lshlrev_b64 v[77:78], 3, v[81:82]
	v_add_nc_u32_e32 v75, s37, v58
	v_ashrrev_i32_e32 v87, 31, v86
	v_add_nc_u32_e32 v59, v76, v13
	v_add_nc_u32_e32 v16, v74, v16
	;; [unrolled: 1-line block ×3, first 2 shown]
	v_ashrrev_i32_e32 v76, 31, v75
	v_add_co_u32 v84, vcc_lo, s16, v77
	v_add_co_ci_u32_e64 v85, null, s17, v78, vcc_lo
	v_lshlrev_b64 v[77:78], 3, v[86:87]
	v_add_nc_u32_e32 v81, s37, v59
	v_lshlrev_b64 v[75:76], 3, v[75:76]
	v_add_nc_u32_e32 v90, s37, v16
	v_add_nc_u32_e32 v14, v74, v14
	;; [unrolled: 1-line block ×3, first 2 shown]
	v_ashrrev_i32_e32 v82, 31, v81
	v_add_co_u32 v86, vcc_lo, s16, v77
	v_add_co_ci_u32_e64 v87, null, s17, v78, vcc_lo
	v_add_nc_u32_e32 v77, s37, v15
	v_add_co_u32 v88, vcc_lo, s16, v75
	v_add_co_ci_u32_e64 v89, null, s17, v76, vcc_lo
	v_lshlrev_b64 v[75:76], 3, v[81:82]
	v_ashrrev_i32_e32 v91, 31, v90
	v_ashrrev_i32_e32 v78, 31, v77
	v_add_nc_u32_e32 v73, s37, v14
	v_add_nc_u32_e32 v16, s29, v16
	;; [unrolled: 1-line block ×3, first 2 shown]
	v_lshlrev_b64 v[81:82], 3, v[90:91]
	v_add_co_u32 v90, vcc_lo, s16, v75
	v_add_co_ci_u32_e64 v91, null, s17, v76, vcc_lo
	v_lshlrev_b64 v[75:76], 3, v[77:78]
	v_add_nc_u32_e32 v77, s37, v13
	v_ashrrev_i32_e32 v74, 31, v73
	v_add_co_u32 v92, vcc_lo, s16, v81
	v_add_co_ci_u32_e64 v93, null, s17, v82, vcc_lo
	v_ashrrev_i32_e32 v78, 31, v77
	v_add_co_u32 v94, vcc_lo, s16, v75
	v_lshlrev_b64 v[73:74], 3, v[73:74]
	v_add_co_ci_u32_e64 v95, null, s17, v76, vcc_lo
	v_lshlrev_b64 v[75:76], 3, v[77:78]
	v_add_nc_u32_e32 v77, s29, v20
	v_add_nc_u32_e32 v81, s29, v17
	v_add_co_u32 v96, vcc_lo, s16, v73
	v_add_co_ci_u32_e64 v97, null, s17, v74, vcc_lo
	v_ashrrev_i32_e32 v78, 31, v77
	v_add_co_u32 v98, vcc_lo, s16, v75
	v_add_co_ci_u32_e64 v99, null, s17, v76, vcc_lo
	v_lshlrev_b64 v[75:76], 3, v[77:78]
	v_add_nc_u32_e32 v77, s29, v11
	global_load_dwordx2 v[10:11], v[18:19], off offset:-8
	v_ashrrev_i32_e32 v82, 31, v81
	v_add_nc_u32_e32 v20, s29, v21
	v_ashrrev_i32_e32 v17, 31, v16
	v_ashrrev_i32_e32 v78, 31, v77
	s_mov_b32 s2, -1
	v_lshlrev_b64 v[73:74], 3, v[81:82]
	v_ashrrev_i32_e32 v21, 31, v20
	v_lshlrev_b64 v[16:17], 3, v[16:17]
	s_mov_b32 s3, s25
	s_waitcnt vmcnt(0)
	buffer_store_dword v10, off, s[44:47], 0 offset:708 ; 4-byte Folded Spill
	buffer_store_dword v11, off, s[44:47], 0 offset:712 ; 4-byte Folded Spill
	global_load_dwordx2 v[10:11], v[26:27], off
	v_add_co_u32 v104, vcc_lo, s16, v73
	v_add_nc_u32_e32 v73, s29, v22
	v_add_co_ci_u32_e64 v105, null, s17, v74, vcc_lo
	v_lshlrev_b64 v[20:21], 3, v[20:21]
	v_add_co_u32 v106, vcc_lo, s16, v75
	v_ashrrev_i32_e32 v74, 31, v73
	v_add_co_ci_u32_e64 v107, null, s17, v76, vcc_lo
	v_lshlrev_b64 v[75:76], 3, v[77:78]
	v_add_co_u32 v20, vcc_lo, s16, v20
	v_lshlrev_b64 v[73:74], 3, v[73:74]
	v_add_co_ci_u32_e64 v21, null, s17, v21, vcc_lo
	v_add_co_u32 v78, vcc_lo, s16, v75
	v_add_nc_u32_e32 v22, s29, v23
	v_add_co_ci_u32_e64 v79, null, s17, v76, vcc_lo
	v_add_co_u32 v108, vcc_lo, s16, v73
	v_add_nc_u32_e32 v73, s29, v24
	v_ashrrev_i32_e32 v23, 31, v22
	v_add_co_ci_u32_e64 v109, null, s17, v74, vcc_lo
	v_add_nc_u32_e32 v24, s29, v25
	v_ashrrev_i32_e32 v74, 31, v73
	v_lshlrev_b64 v[22:23], 3, v[22:23]
	s_waitcnt vmcnt(0)
	buffer_store_dword v10, off, s[44:47], 0 offset:748 ; 4-byte Folded Spill
	buffer_store_dword v11, off, s[44:47], 0 offset:752 ; 4-byte Folded Spill
	global_load_dwordx2 v[10:11], v[28:29], off
	v_lshlrev_b64 v[73:74], 3, v[73:74]
	v_add_co_u32 v22, vcc_lo, s16, v22
	v_add_co_ci_u32_e64 v23, null, s17, v23, vcc_lo
	v_ashrrev_i32_e32 v25, 31, v24
	v_add_co_u32 v110, vcc_lo, s16, v73
	v_add_nc_u32_e32 v73, s29, v51
	v_add_co_ci_u32_e64 v111, null, s17, v74, vcc_lo
	v_lshlrev_b64 v[24:25], 3, v[24:25]
	v_add_nc_u32_e32 v51, s29, v52
	v_ashrrev_i32_e32 v74, 31, v73
	s_waitcnt vmcnt(0)
	buffer_store_dword v10, off, s[44:47], 0 offset:756 ; 4-byte Folded Spill
	buffer_store_dword v11, off, s[44:47], 0 offset:760 ; 4-byte Folded Spill
	global_load_dwordx2 v[10:11], v[30:31], off
	v_lshlrev_b64 v[73:74], 3, v[73:74]
	v_add_co_u32 v24, vcc_lo, s16, v24
	v_add_co_ci_u32_e64 v25, null, s17, v25, vcc_lo
	v_ashrrev_i32_e32 v52, 31, v51
	v_add_co_u32 v112, vcc_lo, s16, v73
	v_add_nc_u32_e32 v73, s29, v58
	v_add_co_ci_u32_e64 v113, null, s17, v74, vcc_lo
	v_lshlrev_b64 v[51:52], 3, v[51:52]
	v_add_nc_u32_e32 v58, s29, v59
	v_ashrrev_i32_e32 v74, 31, v73
	s_waitcnt vmcnt(0)
	buffer_store_dword v10, off, s[44:47], 0 offset:740 ; 4-byte Folded Spill
	buffer_store_dword v11, off, s[44:47], 0 offset:744 ; 4-byte Folded Spill
	global_load_dwordx2 v[10:11], v[32:33], off
	v_lshlrev_b64 v[73:74], 3, v[73:74]
	v_add_co_u32 v51, vcc_lo, s16, v51
	v_add_co_ci_u32_e64 v52, null, s17, v52, vcc_lo
	v_ashrrev_i32_e32 v59, 31, v58
	v_add_co_u32 v114, vcc_lo, s16, v73
	v_add_nc_u32_e32 v73, s29, v15
	v_add_co_ci_u32_e64 v115, null, s17, v74, vcc_lo
	v_lshlrev_b64 v[58:59], 3, v[58:59]
	v_ashrrev_i32_e32 v15, 31, v14
	v_ashrrev_i32_e32 v74, 31, v73
	s_waitcnt vmcnt(0)
	buffer_store_dword v10, off, s[44:47], 0 offset:764 ; 4-byte Folded Spill
	buffer_store_dword v11, off, s[44:47], 0 offset:768 ; 4-byte Folded Spill
	global_load_dwordx2 v[10:11], v[34:35], off
	v_lshlrev_b64 v[73:74], 3, v[73:74]
	v_add_co_u32 v58, vcc_lo, s16, v58
	v_add_co_ci_u32_e64 v59, null, s17, v59, vcc_lo
	v_add_co_u32 v16, vcc_lo, s16, v16
	v_add_co_ci_u32_e64 v17, null, s17, v17, vcc_lo
	v_add_co_u32 v116, vcc_lo, s16, v73
	v_add_nc_u32_e32 v73, s29, v13
	v_add_co_ci_u32_e64 v117, null, s17, v74, vcc_lo
	v_lshlrev_b64 v[14:15], 3, v[14:15]
	s_waitcnt vmcnt(0)
	buffer_store_dword v10, off, s[44:47], 0 offset:732 ; 4-byte Folded Spill
	buffer_store_dword v11, off, s[44:47], 0 offset:736 ; 4-byte Folded Spill
	global_load_dwordx2 v[10:11], v[36:37], off
	v_ashrrev_i32_e32 v74, 31, v73
	v_add_co_u32 v14, vcc_lo, s16, v14
	v_add_co_ci_u32_e64 v15, null, s17, v15, vcc_lo
	v_lshlrev_b64 v[73:74], 3, v[73:74]
	s_waitcnt vmcnt(0)
	buffer_store_dword v10, off, s[44:47], 0 offset:716 ; 4-byte Folded Spill
	buffer_store_dword v11, off, s[44:47], 0 offset:720 ; 4-byte Folded Spill
	global_load_dwordx2 v[10:11], v[38:39], off
	v_add_co_u32 v120, vcc_lo, s16, v73
	v_add_co_ci_u32_e64 v121, null, s17, v74, vcc_lo
	s_waitcnt vmcnt(0)
	buffer_store_dword v10, off, s[44:47], 0 offset:724 ; 4-byte Folded Spill
	buffer_store_dword v11, off, s[44:47], 0 offset:728 ; 4-byte Folded Spill
	global_load_dwordx2 v[10:11], v[40:41], off
	s_waitcnt vmcnt(0)
	buffer_store_dword v10, off, s[44:47], 0 offset:700 ; 4-byte Folded Spill
	buffer_store_dword v11, off, s[44:47], 0 offset:704 ; 4-byte Folded Spill
	global_load_dwordx2 v[10:11], v[42:43], off
	;; [unrolled: 4-line block ×3, first 2 shown]
	s_waitcnt vmcnt(0)
	buffer_store_dword v10, off, s[44:47], 0 offset:200 ; 4-byte Folded Spill
	buffer_store_dword v11, off, s[44:47], 0 offset:204 ; 4-byte Folded Spill
	s_clause 0x1
	global_load_dwordx2 v[42:43], v[46:47], off
	global_load_dwordx2 v[10:11], v[48:49], off
	s_waitcnt vmcnt(0)
	buffer_store_dword v10, off, s[44:47], 0 offset:112 ; 4-byte Folded Spill
	buffer_store_dword v11, off, s[44:47], 0 offset:116 ; 4-byte Folded Spill
	s_clause 0x3
	global_load_dwordx2 v[74:75], v[60:61], off
	global_load_dwordx2 v[44:45], v[64:65], off
	;; [unrolled: 1-line block ×4, first 2 shown]
	v_mov_b32_e32 v72, 0
	v_mov_b32_e32 v73, 0
	s_waitcnt vmcnt(0)
	buffer_store_dword v10, off, s[44:47], 0 offset:232 ; 4-byte Folded Spill
	buffer_store_dword v11, off, s[44:47], 0 offset:236 ; 4-byte Folded Spill
	global_load_dwordx2 v[10:11], v[84:85], off
	s_waitcnt vmcnt(0)
	buffer_store_dword v10, off, s[44:47], 0 offset:812 ; 4-byte Folded Spill
	buffer_store_dword v11, off, s[44:47], 0 offset:816 ; 4-byte Folded Spill
	global_load_dwordx2 v[10:11], v[86:87], off
	;; [unrolled: 4-line block ×3, first 2 shown]
	v_mov_b32_e32 v88, 0
	v_mov_b32_e32 v89, 0
	s_waitcnt vmcnt(0)
	buffer_store_dword v10, off, s[44:47], 0 offset:176 ; 4-byte Folded Spill
	buffer_store_dword v11, off, s[44:47], 0 offset:180 ; 4-byte Folded Spill
	global_load_dwordx2 v[10:11], v[90:91], off
	s_waitcnt vmcnt(0)
	buffer_store_dword v10, off, s[44:47], 0 offset:168 ; 4-byte Folded Spill
	buffer_store_dword v11, off, s[44:47], 0 offset:172 ; 4-byte Folded Spill
	global_load_dwordx2 v[10:11], v[92:93], off
	v_mov_b32_e32 v92, 0
	v_mov_b32_e32 v93, 0
	s_waitcnt vmcnt(0)
	buffer_store_dword v10, off, s[44:47], 0 offset:224 ; 4-byte Folded Spill
	buffer_store_dword v11, off, s[44:47], 0 offset:228 ; 4-byte Folded Spill
	global_load_dwordx2 v[10:11], v[94:95], off
	s_waitcnt vmcnt(0)
	buffer_store_dword v10, off, s[44:47], 0 offset:208 ; 4-byte Folded Spill
	buffer_store_dword v11, off, s[44:47], 0 offset:212 ; 4-byte Folded Spill
	global_load_dwordx2 v[10:11], v[96:97], off
	v_mov_b32_e32 v96, 0
	v_mov_b32_e32 v97, 0
	s_waitcnt vmcnt(0)
	buffer_store_dword v10, off, s[44:47], 0 offset:192 ; 4-byte Folded Spill
	buffer_store_dword v11, off, s[44:47], 0 offset:196 ; 4-byte Folded Spill
	global_load_dwordx2 v[10:11], v[98:99], off
	v_mov_b32_e32 v98, 0
	v_mov_b32_e32 v99, 0
	s_waitcnt vmcnt(0)
	buffer_store_dword v10, off, s[44:47], 0 offset:184 ; 4-byte Folded Spill
	buffer_store_dword v11, off, s[44:47], 0 offset:188 ; 4-byte Folded Spill
	global_load_dwordx2 v[10:11], v[104:105], off
	v_mov_b32_e32 v104, 0
	v_mov_b32_e32 v105, 0
	s_waitcnt vmcnt(0)
	buffer_store_dword v10, off, s[44:47], 0 offset:160 ; 4-byte Folded Spill
	buffer_store_dword v11, off, s[44:47], 0 offset:164 ; 4-byte Folded Spill
	global_load_dwordx2 v[10:11], v[106:107], off
	v_mov_b32_e32 v106, 0
	v_mov_b32_e32 v107, 0
	s_waitcnt vmcnt(0)
	buffer_store_dword v10, off, s[44:47], 0 offset:104 ; 4-byte Folded Spill
	buffer_store_dword v11, off, s[44:47], 0 offset:108 ; 4-byte Folded Spill
	global_load_dwordx2 v[10:11], v[20:21], off
	s_waitcnt vmcnt(0)
	buffer_store_dword v10, off, s[44:47], 0 offset:56 ; 4-byte Folded Spill
	buffer_store_dword v11, off, s[44:47], 0 offset:60 ; 4-byte Folded Spill
	global_load_dwordx2 v[10:11], v[78:79], off
	;; [unrolled: 4-line block ×3, first 2 shown]
	v_mov_b32_e32 v108, 0
	v_mov_b32_e32 v109, 0
	s_waitcnt vmcnt(0)
	buffer_store_dword v10, off, s[44:47], 0 offset:128 ; 4-byte Folded Spill
	buffer_store_dword v11, off, s[44:47], 0 offset:132 ; 4-byte Folded Spill
	global_load_dwordx2 v[10:11], v[22:23], off
	s_waitcnt vmcnt(0)
	buffer_store_dword v10, off, s[44:47], 0 offset:136 ; 4-byte Folded Spill
	buffer_store_dword v11, off, s[44:47], 0 offset:140 ; 4-byte Folded Spill
	global_load_dwordx2 v[10:11], v[110:111], off
	v_mov_b32_e32 v110, 0
	v_mov_b32_e32 v111, 0
	s_waitcnt vmcnt(0)
	buffer_store_dword v10, off, s[44:47], 0 offset:72 ; 4-byte Folded Spill
	buffer_store_dword v11, off, s[44:47], 0 offset:76 ; 4-byte Folded Spill
	global_load_dwordx2 v[10:11], v[24:25], off
	s_waitcnt vmcnt(0)
	buffer_store_dword v10, off, s[44:47], 0 offset:120 ; 4-byte Folded Spill
	buffer_store_dword v11, off, s[44:47], 0 offset:124 ; 4-byte Folded Spill
	global_load_dwordx2 v[10:11], v[112:113], off
	;; [unrolled: 10-line block ×4, first 2 shown]
	s_waitcnt vmcnt(0)
	buffer_store_dword v10, off, s[44:47], 0 offset:788 ; 4-byte Folded Spill
	buffer_store_dword v11, off, s[44:47], 0 offset:792 ; 4-byte Folded Spill
	global_load_dwordx2 v[10:11], v[116:117], off
	v_mov_b32_e32 v116, 0
	v_mov_b32_e32 v117, 0
	s_waitcnt vmcnt(0)
	buffer_store_dword v10, off, s[44:47], 0 offset:780 ; 4-byte Folded Spill
	buffer_store_dword v11, off, s[44:47], 0 offset:784 ; 4-byte Folded Spill
	global_load_dwordx2 v[10:11], v[14:15], off
	s_waitcnt vmcnt(0)
	buffer_store_dword v10, off, s[44:47], 0 offset:96 ; 4-byte Folded Spill
	buffer_store_dword v11, off, s[44:47], 0 offset:100 ; 4-byte Folded Spill
	global_load_dwordx2 v[10:11], v[120:121], off
	s_waitcnt vmcnt(0)
	buffer_store_dword v10, off, s[44:47], 0 offset:216 ; 4-byte Folded Spill
	buffer_store_dword v11, off, s[44:47], 0 offset:220 ; 4-byte Folded Spill
.LBB0_6:                                ; =>This Inner Loop Header: Depth=1
	v_add_nc_u32_e32 v13, s2, v50
	s_ashr_i32 s6, s3, 31
	s_add_i32 s2, s2, 6
	v_ashrrev_i32_e32 v14, 31, v13
	v_lshlrev_b64 v[13:14], 3, v[13:14]
	v_add_co_u32 v13, vcc_lo, s14, v13
	v_add_co_ci_u32_e64 v14, null, s15, v14, vcc_lo
	v_add_co_u32 v11, vcc_lo, s3, v119
	s_add_i32 s3, s3, s25
	global_load_dwordx2 v[18:19], v[13:14], off
	v_ashrrev_i32_e32 v13, 31, v119
	s_cmp_eq_u32 s2, 47
	v_add_co_ci_u32_e64 v17, null, s6, v13, vcc_lo
	v_add_co_u32 v13, vcc_lo, v11, s29
	v_add_co_ci_u32_e64 v14, null, s34, v17, vcc_lo
	v_lshlrev_b64 v[13:14], 3, v[13:14]
	v_add_co_u32 v28, vcc_lo, s16, v13
	v_add_co_ci_u32_e64 v29, null, s17, v14, vcc_lo
	global_load_dwordx4 v[13:16], v[28:29], off offset:-16
	s_waitcnt vmcnt(0)
	v_fma_f64 v[116:117], v[18:19], v[13:14], v[116:117]
	v_add_co_u32 v13, vcc_lo, v11, s37
	v_add_co_ci_u32_e64 v14, null, s38, v17, vcc_lo
	v_fma_f64 v[72:73], v[18:19], v[15:16], v[72:73]
	v_lshlrev_b64 v[13:14], 3, v[13:14]
	v_add_co_u32 v30, vcc_lo, s16, v13
	v_add_co_ci_u32_e64 v31, null, s17, v14, vcc_lo
	v_add_co_u32 v13, vcc_lo, v11, s39
	v_add_co_ci_u32_e64 v14, null, s40, v17, vcc_lo
	global_load_dwordx4 v[20:23], v[30:31], off offset:-16
	v_lshlrev_b64 v[13:14], 3, v[13:14]
	v_add_co_u32 v32, vcc_lo, s16, v13
	v_add_co_ci_u32_e64 v33, null, s17, v14, vcc_lo
	s_clause 0x1
	global_load_dwordx4 v[13:16], v[28:29], off offset:8
	global_load_dwordx4 v[24:27], v[32:33], off offset:-16
	s_waitcnt vmcnt(2)
	v_fma_f64 v[104:105], v[18:19], v[20:21], v[104:105]
	v_fma_f64 v[110:111], v[18:19], v[22:23], v[110:111]
	global_load_dwordx4 v[20:23], v[30:31], off offset:8
	s_waitcnt vmcnt(2)
	v_fma_f64 v[88:89], v[18:19], v[15:16], v[88:89]
	v_fma_f64 v[114:115], v[18:19], v[13:14], v[114:115]
	s_waitcnt vmcnt(1)
	v_fma_f64 v[98:99], v[18:19], v[24:25], v[98:99]
	v_fma_f64 v[108:109], v[18:19], v[26:27], v[108:109]
	s_waitcnt vmcnt(0)
	v_fma_f64 v[96:97], v[18:19], v[22:23], v[96:97]
	global_load_dwordx4 v[22:25], v[32:33], off offset:8
	v_fma_f64 v[112:113], v[18:19], v[20:21], v[112:113]
	s_waitcnt vmcnt(0)
	v_fma_f64 v[106:107], v[18:19], v[24:25], v[106:107]
	v_fma_f64 v[92:93], v[18:19], v[22:23], v[92:93]
	s_cbranch_scc0 .LBB0_6
; %bb.7:
	buffer_store_dword v102, off, s[44:47], 0 offset:852 ; 4-byte Folded Spill
	buffer_store_dword v103, off, s[44:47], 0 offset:856 ; 4-byte Folded Spill
	;; [unrolled: 1-line block ×8, first 2 shown]
	v_add_co_u32 v13, vcc_lo, s22, v125
	buffer_store_dword v125, off, s[44:47], 0 offset:368 ; 4-byte Folded Spill
	buffer_store_dword v126, off, s[44:47], 0 offset:372 ; 4-byte Folded Spill
	s_lshl_b32 s6, s29, 2
	v_xad_u32 v1, s1, -1, v1
	s_ashr_i32 s2, s6, 31
	s_mul_i32 s1, s31, 3
	s_lshl_b32 s3, s30, 2
	s_add_i32 s27, s27, s24
	v_subrev_nc_u32_e32 v1, s0, v1
	s_not_b32 s0, s0
	v_add3_u32 v0, s27, s31, v0
	v_mov_b32_e32 v84, 0
	v_mov_b32_e32 v64, 0
	v_mul_lo_u32 v1, v1, s28
	v_mov_b32_e32 v60, 0
	v_mov_b32_e32 v90, 0
	;; [unrolled: 1-line block ×7, first 2 shown]
	v_add_nc_u32_e32 v11, v12, v1
	v_add_nc_u32_e32 v1, v0, v1
	v_mov_b32_e32 v95, 0
	v_subrev_nc_u32_e32 v121, s30, v11
	v_add_co_ci_u32_e64 v14, null, s23, v126, vcc_lo
	v_mov_b32_e32 v126, 0
	v_mov_b32_e32 v127, 0
	global_load_dwordx4 v[15:18], v[13:14], off offset:8
	s_waitcnt vmcnt(0)
	buffer_store_dword v15, off, s[44:47], 0 offset:820 ; 4-byte Folded Spill
	buffer_store_dword v16, off, s[44:47], 0 offset:824 ; 4-byte Folded Spill
	;; [unrolled: 1-line block ×4, first 2 shown]
	v_add_co_u32 v15, vcc_lo, s22, v62
	buffer_store_dword v62, off, s[44:47], 0 offset:520 ; 4-byte Folded Spill
	buffer_store_dword v63, off, s[44:47], 0 offset:524 ; 4-byte Folded Spill
	v_add_co_ci_u32_e64 v16, null, s23, v63, vcc_lo
	global_load_dwordx4 v[17:20], v[15:16], off offset:8
	s_waitcnt vmcnt(0)
	buffer_store_dword v17, off, s[44:47], 0 offset:836 ; 4-byte Folded Spill
	buffer_store_dword v18, off, s[44:47], 0 offset:840 ; 4-byte Folded Spill
	;; [unrolled: 1-line block ×4, first 2 shown]
	v_add_co_u32 v17, vcc_lo, v118, s6
	v_add_co_ci_u32_e64 v18, null, s2, v124, vcc_lo
	v_mov_b32_e32 v124, 0
	v_mov_b32_e32 v118, 0
	;; [unrolled: 1-line block ×3, first 2 shown]
	v_lshlrev_b64 v[17:18], 3, v[17:18]
	v_mov_b32_e32 v119, 0
	s_mov_b32 s2, -1
	v_add_co_u32 v17, vcc_lo, s22, v17
	v_add_co_ci_u32_e64 v18, null, s23, v18, vcc_lo
	global_load_dwordx4 v[19:22], v[17:18], off offset:8
	s_waitcnt vmcnt(0)
	buffer_store_dword v19, off, s[44:47], 0 offset:860 ; 4-byte Folded Spill
	buffer_store_dword v20, off, s[44:47], 0 offset:864 ; 4-byte Folded Spill
	;; [unrolled: 1-line block ×4, first 2 shown]
	s_clause 0x2
	global_load_dwordx4 v[46:49], v[13:14], off offset:-16
	global_load_dwordx4 v[38:41], v[15:16], off offset:-16
	;; [unrolled: 1-line block ×3, first 2 shown]
	v_add_nc_u32_e32 v13, s1, v11
	v_mov_b32_e32 v18, 0
	v_mov_b32_e32 v19, 0
	v_subrev_nc_u32_e32 v13, s3, v13
	v_add_nc_u32_e32 v26, 3, v13
	v_add_nc_u32_e32 v13, s0, v80
	v_mov_b32_e32 v80, 0
	v_mov_b32_e32 v81, 0
	;; [unrolled: 1-line block ×3, first 2 shown]
	v_mul_lo_u32 v13, v13, s28
	v_add_nc_u32_e32 v15, v12, v13
	v_add_nc_u32_e32 v14, s1, v15
	v_subrev_nc_u32_e32 v51, s30, v15
	v_subrev_nc_u32_e32 v14, s3, v14
	v_add_nc_u32_e32 v23, 3, v14
	v_add_nc_u32_e32 v14, s0, v70
	s_lshl_b32 s0, s31, 2
	v_mov_b32_e32 v70, 0
	v_mov_b32_e32 v71, 0
	;; [unrolled: 1-line block ×3, first 2 shown]
	v_mul_lo_u32 v16, v14, s28
	v_add_nc_u32_e32 v12, v12, v16
	v_add_nc_u32_e32 v14, s1, v12
	s_mul_i32 s1, s30, 5
	v_subrev_nc_u32_e32 v52, s30, v12
	v_subrev_nc_u32_e32 v14, s3, v14
	v_add_nc_u32_e32 v78, 3, v14
	v_add_nc_u32_e32 v14, s0, v11
	v_mov_b32_e32 v11, v52
	v_mov_b32_e32 v24, v78
	v_subrev_nc_u32_e32 v14, s1, v14
	v_add_nc_u32_e32 v25, 4, v14
	v_add_nc_u32_e32 v14, s0, v15
	v_mov_b32_e32 v17, v25
	v_subrev_nc_u32_e32 v14, s1, v14
	v_add_nc_u32_e32 v86, 4, v14
	v_add_nc_u32_e32 v14, s0, v12
	s_lshl_b32 s0, s30, 1
	v_mov_b32_e32 v12, v51
	v_subrev_nc_u32_e32 v1, s0, v1
	v_subrev_nc_u32_e32 v14, s1, v14
	v_add_nc_u32_e32 v87, 4, v14
	v_add_nc_u32_e32 v14, 1, v1
	;; [unrolled: 1-line block ×4, first 2 shown]
	v_mov_b32_e32 v13, v121
	v_mov_b32_e32 v15, v87
	;; [unrolled: 1-line block ×3, first 2 shown]
	v_subrev_nc_u32_e32 v1, s0, v1
	v_subrev_nc_u32_e32 v0, s0, v0
	v_mov_b32_e32 v16, v86
	v_add_nc_u32_e32 v21, 1, v1
	v_add_nc_u32_e32 v58, 1, v0
	v_mov_b32_e32 v0, 0
	v_mov_b32_e32 v1, 0
	;; [unrolled: 1-line block ×4, first 2 shown]
.LBB0_8:                                ; =>This Inner Loop Header: Depth=1
	v_add_nc_u32_e32 v27, s2, v50
	s_add_i32 s2, s2, 6
	s_cmp_eq_u32 s2, 47
	v_ashrrev_i32_e32 v28, 31, v27
	v_lshlrev_b64 v[27:28], 3, v[27:28]
	v_add_co_u32 v27, vcc_lo, s14, v27
	v_add_co_ci_u32_e64 v28, null, s15, v28, vcc_lo
	global_load_dwordx2 v[66:67], v[27:28], off
	v_add_nc_u32_e32 v27, s33, v13
	v_add_nc_u32_e32 v13, s25, v13
	v_ashrrev_i32_e32 v28, 31, v27
	v_lshlrev_b64 v[27:28], 3, v[27:28]
	v_add_co_u32 v27, vcc_lo, s16, v27
	v_add_co_ci_u32_e64 v28, null, s17, v28, vcc_lo
	global_load_dwordx2 v[27:28], v[27:28], off
	s_waitcnt vmcnt(0)
	v_fma_f64 v[118:119], v[66:67], v[27:28], v[118:119]
	v_add_nc_u32_e32 v27, s33, v12
	v_add_nc_u32_e32 v12, s25, v12
	v_ashrrev_i32_e32 v28, 31, v27
	v_lshlrev_b64 v[27:28], 3, v[27:28]
	v_add_co_u32 v27, vcc_lo, s16, v27
	v_add_co_ci_u32_e64 v28, null, s17, v28, vcc_lo
	global_load_dwordx2 v[27:28], v[27:28], off
	s_waitcnt vmcnt(0)
	v_fma_f64 v[60:61], v[66:67], v[27:28], v[60:61]
	;; [unrolled: 9-line block ×12, first 2 shown]
	s_cbranch_scc0 .LBB0_8
; %bb.9:
	s_clause 0xf
	buffer_load_dword v10, off, s[44:47], 0 offset:500
	buffer_load_dword v11, off, s[44:47], 0 offset:504
	;; [unrolled: 1-line block ×16, first 2 shown]
	s_mov_b32 s0, 0x55555555
	s_mov_b32 s1, 0x3fb55555
	;; [unrolled: 1-line block ×4, first 2 shown]
	s_waitcnt vmcnt(14)
	v_mul_f64 v[11:12], v[10:11], v[46:47]
	s_waitcnt vmcnt(12)
	v_mul_f64 v[15:16], v[15:16], v[48:49]
	;; [unrolled: 2-line block ×4, first 2 shown]
	v_mul_f64 v[48:49], v[62:63], v[33:34]
	s_waitcnt vmcnt(6)
	v_mul_f64 v[11:12], v[53:54], v[11:12]
	s_waitcnt vmcnt(4)
	v_mul_f64 v[15:16], v[55:56], v[15:16]
	v_mul_f64 v[27:28], v[53:54], v[27:28]
	;; [unrolled: 1-line block ×4, first 2 shown]
	s_waitcnt vmcnt(2)
	v_mul_f64 v[102:103], v[29:30], v[11:12]
	s_waitcnt vmcnt(0)
	v_mul_f64 v[15:16], v[31:32], v[15:16]
	v_mul_f64 v[66:67], v[98:99], v[27:28]
	;; [unrolled: 1-line block ×4, first 2 shown]
	v_add_f64 v[11:12], v[74:75], -v[44:45]
	v_mul_f64 v[27:28], v[29:30], v[27:28]
	v_fma_f64 v[48:49], v[29:30], v[66:67], v[48:49]
	v_mul_f64 v[66:67], v[108:109], v[46:47]
	v_mul_f64 v[46:47], v[110:111], v[46:47]
	v_mul_f64 v[11:12], v[11:12], s[0:1]
	buffer_store_dword v48, off, s[44:47], 0 offset:500 ; 4-byte Folded Spill
	buffer_store_dword v49, off, s[44:47], 0 offset:504 ; 4-byte Folded Spill
	v_mul_f64 v[48:49], v[82:83], v[35:36]
	v_mul_f64 v[29:30], v[31:32], v[46:47]
	;; [unrolled: 1-line block ×4, first 2 shown]
	v_fma_f64 v[48:49], v[31:32], v[66:67], v[48:49]
	buffer_store_dword v48, off, s[44:47], 0 offset:508 ; 4-byte Folded Spill
	buffer_store_dword v49, off, s[44:47], 0 offset:512 ; 4-byte Folded Spill
	s_clause 0x1
	buffer_load_dword v31, off, s[44:47], 0 offset:232
	buffer_load_dword v32, off, s[44:47], 0 offset:236
	buffer_store_dword v44, off, s[44:47], 0 offset:916 ; 4-byte Folded Spill
	buffer_store_dword v45, off, s[44:47], 0 offset:920 ; 4-byte Folded Spill
	;; [unrolled: 1-line block ×4, first 2 shown]
	s_waitcnt vmcnt(0)
	v_add_f64 v[31:32], v[76:77], -v[31:32]
	v_fma_f64 v[11:12], v[31:32], s[2:3], -v[11:12]
	s_clause 0x3
	buffer_load_dword v100, off, s[44:47], 0 offset:796
	buffer_load_dword v101, off, s[44:47], 0 offset:800
	;; [unrolled: 1-line block ×4, first 2 shown]
	buffer_store_dword v76, off, s[44:47], 0 offset:900 ; 4-byte Folded Spill
	buffer_store_dword v77, off, s[44:47], 0 offset:904 ; 4-byte Folded Spill
	s_clause 0x1
	buffer_load_dword v44, off, s[44:47], 0 offset:112
	buffer_load_dword v45, off, s[44:47], 0 offset:116
	s_waitcnt vmcnt(2)
	v_add_f64 v[31:32], v[100:101], -v[31:32]
	s_waitcnt vmcnt(0)
	v_add_f64 v[46:47], v[42:43], -v[44:45]
	v_mul_f64 v[31:32], v[31:32], s[0:1]
	v_fma_f64 v[31:32], v[46:47], s[2:3], -v[31:32]
	s_clause 0x1
	buffer_load_dword v46, off, s[44:47], 0 offset:552
	buffer_load_dword v47, off, s[44:47], 0 offset:556
	s_waitcnt vmcnt(0)
	v_mul_f64 v[11:12], v[46:47], v[11:12]
	s_clause 0x1
	buffer_load_dword v46, off, s[44:47], 0 offset:616
	buffer_load_dword v47, off, s[44:47], 0 offset:620
	s_waitcnt vmcnt(0)
	v_fma_f64 v[10:11], v[46:47], v[31:32], -v[11:12]
	buffer_store_dword v10, off, s[44:47], 0 offset:416 ; 4-byte Folded Spill
	buffer_store_dword v11, off, s[44:47], 0 offset:420 ; 4-byte Folded Spill
	s_clause 0xb
	buffer_load_dword v10, off, s[44:47], 0 offset:208
	buffer_load_dword v11, off, s[44:47], 0 offset:212
	;; [unrolled: 1-line block ×12, first 2 shown]
	s_waitcnt vmcnt(8)
	v_add_f64 v[11:12], v[12:13], -v[10:11]
	s_waitcnt vmcnt(4)
	v_add_f64 v[31:32], v[44:45], -v[31:32]
	s_clause 0x3
	buffer_load_dword v44, off, s[44:47], 0 offset:168
	buffer_load_dword v45, off, s[44:47], 0 offset:172
	;; [unrolled: 1-line block ×4, first 2 shown]
	v_mul_f64 v[11:12], v[11:12], s[0:1]
	v_fma_f64 v[11:12], v[31:32], s[2:3], -v[11:12]
	s_waitcnt vmcnt(4)
	v_add_f64 v[31:32], v[76:77], -v[74:75]
	v_mul_f64 v[31:32], v[31:32], s[0:1]
	s_waitcnt vmcnt(0)
	v_add_f64 v[46:47], v[46:47], -v[44:45]
	v_fma_f64 v[31:32], v[46:47], s[2:3], -v[31:32]
	s_clause 0x1
	buffer_load_dword v46, off, s[44:47], 0 offset:576
	buffer_load_dword v47, off, s[44:47], 0 offset:580
	s_waitcnt vmcnt(0)
	v_mul_f64 v[11:12], v[46:47], v[11:12]
	s_clause 0x1
	buffer_load_dword v46, off, s[44:47], 0 offset:608
	buffer_load_dword v47, off, s[44:47], 0 offset:612
	s_waitcnt vmcnt(0)
	v_fma_f64 v[10:11], v[46:47], v[31:32], -v[11:12]
	buffer_store_dword v10, off, s[44:47], 0 offset:552 ; 4-byte Folded Spill
	buffer_store_dword v11, off, s[44:47], 0 offset:556 ; 4-byte Folded Spill
	s_clause 0x7
	buffer_load_dword v10, off, s[44:47], 0 offset:104
	buffer_load_dword v11, off, s[44:47], 0 offset:108
	;; [unrolled: 1-line block ×8, first 2 shown]
	s_waitcnt vmcnt(4)
	v_add_f64 v[11:12], v[12:13], -v[10:11]
	s_waitcnt vmcnt(0)
	v_add_f64 v[31:32], v[31:32], -v[44:45]
	v_mul_f64 v[11:12], v[11:12], s[0:1]
	v_fma_f64 v[11:12], v[31:32], s[2:3], -v[11:12]
	s_clause 0x3
	buffer_load_dword v31, off, s[44:47], 0 offset:128
	buffer_load_dword v32, off, s[44:47], 0 offset:132
	;; [unrolled: 1-line block ×4, first 2 shown]
	buffer_store_dword v42, off, s[44:47], 0 offset:908 ; 4-byte Folded Spill
	buffer_store_dword v43, off, s[44:47], 0 offset:912 ; 4-byte Folded Spill
	s_waitcnt vmcnt(0)
	v_add_f64 v[31:32], v[31:32], -v[44:45]
	s_clause 0x3
	buffer_load_dword v44, off, s[44:47], 0 offset:72
	buffer_load_dword v45, off, s[44:47], 0 offset:76
	;; [unrolled: 1-line block ×4, first 2 shown]
	v_mul_f64 v[31:32], v[31:32], s[0:1]
	s_waitcnt vmcnt(0)
	v_add_f64 v[66:67], v[44:45], -v[42:43]
	s_clause 0x3
	buffer_load_dword v46, off, s[44:47], 0
	buffer_load_dword v47, off, s[44:47], 0 offset:4
	buffer_load_dword v44, off, s[44:47], 0 offset:32
	;; [unrolled: 1-line block ×3, first 2 shown]
	v_fma_f64 v[31:32], v[66:67], s[2:3], -v[31:32]
	s_waitcnt vmcnt(0)
	v_mul_f64 v[66:67], v[46:47], v[44:45]
	v_mul_f64 v[66:67], v[46:47], v[66:67]
	s_clause 0x3
	buffer_load_dword v46, off, s[44:47], 0 offset:16
	buffer_load_dword v47, off, s[44:47], 0 offset:20
	;; [unrolled: 1-line block ×4, first 2 shown]
	v_mul_f64 v[31:32], v[66:67], v[31:32]
	s_waitcnt vmcnt(0)
	v_mul_f64 v[66:67], v[46:47], v[44:45]
	v_mul_f64 v[66:67], v[46:47], v[66:67]
	v_fma_f64 v[10:11], v[66:67], v[11:12], -v[31:32]
	buffer_store_dword v10, off, s[44:47], 0 offset:576 ; 4-byte Folded Spill
	buffer_store_dword v11, off, s[44:47], 0 offset:580 ; 4-byte Folded Spill
	s_clause 0xb
	buffer_load_dword v10, off, s[44:47], 0 offset:144
	buffer_load_dword v11, off, s[44:47], 0 offset:148
	;; [unrolled: 1-line block ×12, first 2 shown]
	s_waitcnt vmcnt(8)
	v_add_f64 v[11:12], v[12:13], -v[10:11]
	s_waitcnt vmcnt(4)
	v_add_f64 v[31:32], v[44:45], -v[31:32]
	s_clause 0x3
	buffer_load_dword v44, off, s[44:47], 0 offset:216
	buffer_load_dword v45, off, s[44:47], 0 offset:220
	;; [unrolled: 1-line block ×4, first 2 shown]
	v_mul_f64 v[11:12], v[11:12], s[0:1]
	v_fma_f64 v[11:12], v[31:32], s[2:3], -v[11:12]
	s_waitcnt vmcnt(4)
	v_add_f64 v[31:32], v[46:47], -v[66:67]
	v_mul_f64 v[31:32], v[31:32], s[0:1]
	s_waitcnt vmcnt(0)
	v_add_f64 v[48:49], v[48:49], -v[44:45]
	s_clause 0x3
	buffer_load_dword v122, off, s[44:47], 0 offset:328
	buffer_load_dword v123, off, s[44:47], 0 offset:332
	;; [unrolled: 1-line block ×4, first 2 shown]
	v_fma_f64 v[31:32], v[48:49], s[2:3], -v[31:32]
	s_waitcnt vmcnt(0)
	v_mul_f64 v[48:49], v[122:123], v[44:45]
	v_mul_f64 v[48:49], v[122:123], v[48:49]
	;; [unrolled: 1-line block ×3, first 2 shown]
	s_clause 0x3
	buffer_load_dword v44, off, s[44:47], 0 offset:8
	buffer_load_dword v45, off, s[44:47], 0 offset:12
	;; [unrolled: 1-line block ×4, first 2 shown]
	s_waitcnt vmcnt(0)
	v_mul_f64 v[48:49], v[44:45], v[48:49]
	v_mul_f64 v[48:49], v[44:45], v[48:49]
	v_fma_f64 v[10:11], v[48:49], v[11:12], -v[31:32]
	v_mul_f64 v[48:49], v[82:83], v[40:41]
	buffer_store_dword v10, off, s[44:47], 0 offset:608 ; 4-byte Folded Spill
	buffer_store_dword v11, off, s[44:47], 0 offset:612 ; 4-byte Folded Spill
	s_clause 0x1
	buffer_load_dword v12, off, s[44:47], 0 offset:312
	buffer_load_dword v13, off, s[44:47], 0 offset:316
	s_waitcnt vmcnt(0)
	v_mul_f64 v[31:32], v[12:13], v[38:39]
	v_mul_f64 v[42:43], v[12:13], v[33:34]
	;; [unrolled: 1-line block ×6, first 2 shown]
	v_fma_f64 v[31:32], v[116:117], v[102:103], v[31:32]
	v_fma_f64 v[10:11], v[98:99], v[42:43], v[31:32]
	v_mul_f64 v[31:32], v[62:63], v[38:39]
	buffer_store_dword v10, off, s[44:47], 0 offset:616 ; 4-byte Folded Spill
	buffer_store_dword v11, off, s[44:47], 0 offset:620 ; 4-byte Folded Spill
	s_clause 0x1
	buffer_load_dword v82, off, s[44:47], 0 offset:320
	buffer_load_dword v83, off, s[44:47], 0 offset:324
	s_waitcnt vmcnt(0)
	v_mul_f64 v[38:39], v[82:83], v[40:41]
	v_mul_f64 v[40:41], v[82:83], v[35:36]
	;; [unrolled: 1-line block ×5, first 2 shown]
	v_fma_f64 v[15:16], v[72:73], v[15:16], v[38:39]
	v_mul_f64 v[38:39], v[55:56], v[40:41]
	v_fma_f64 v[10:11], v[108:109], v[38:39], v[15:16]
	v_mul_f64 v[15:16], v[53:54], v[31:32]
	buffer_store_dword v10, off, s[44:47], 0 offset:400 ; 4-byte Folded Spill
	buffer_store_dword v11, off, s[44:47], 0 offset:404 ; 4-byte Folded Spill
	s_clause 0x1
	buffer_load_dword v62, off, s[44:47], 0 offset:408
	buffer_load_dword v63, off, s[44:47], 0 offset:412
	s_waitcnt vmcnt(0)
	v_mul_f64 v[27:28], v[62:63], v[27:28]
	v_fma_f64 v[10:11], v[116:117], v[15:16], v[27:28]
	v_mul_f64 v[15:16], v[55:56], v[48:49]
	v_mul_f64 v[27:28], v[62:63], v[29:30]
	buffer_store_dword v10, off, s[44:47], 0 offset:456 ; 4-byte Folded Spill
	buffer_store_dword v11, off, s[44:47], 0 offset:460 ; 4-byte Folded Spill
	v_fma_f64 v[10:11], v[72:73], v[15:16], v[27:28]
	buffer_store_dword v10, off, s[44:47], 0 offset:884 ; 4-byte Folded Spill
	buffer_store_dword v11, off, s[44:47], 0 offset:888 ; 4-byte Folded Spill
	s_clause 0xd
	buffer_load_dword v10, off, s[44:47], 0 offset:472
	buffer_load_dword v11, off, s[44:47], 0 offset:476
	;; [unrolled: 1-line block ×14, first 2 shown]
	s_waitcnt vmcnt(8)
	v_mul_f64 v[15:16], v[10:11], v[110:111]
	s_clause 0x5
	buffer_load_dword v10, off, s[44:47], 0 offset:304
	buffer_load_dword v11, off, s[44:47], 0 offset:308
	;; [unrolled: 1-line block ×6, first 2 shown]
	s_waitcnt vmcnt(8)
	v_mul_f64 v[27:28], v[38:39], v[104:105]
	s_waitcnt vmcnt(6)
	v_mul_f64 v[15:16], v[32:33], v[15:16]
	v_mul_f64 v[27:28], v[32:33], v[27:28]
	;; [unrolled: 1-line block ×4, first 2 shown]
	s_waitcnt vmcnt(4)
	v_mul_f64 v[15:16], v[10:11], v[15:16]
	v_fma_f64 v[15:16], v[88:89], v[15:16], v[27:28]
	s_waitcnt vmcnt(0)
	v_mul_f64 v[27:28], v[38:39], v[44:45]
	v_mul_f64 v[27:28], v[32:33], v[27:28]
	v_fma_f64 v[15:16], v[106:107], v[27:28], v[15:16]
	buffer_store_dword v15, off, s[44:47], 0 offset:472 ; 4-byte Folded Spill
	buffer_store_dword v16, off, s[44:47], 0 offset:476 ; 4-byte Folded Spill
	s_clause 0x1
	buffer_load_dword v40, off, s[44:47], 0 offset:464
	buffer_load_dword v41, off, s[44:47], 0 offset:468
	s_waitcnt vmcnt(0)
	v_mul_f64 v[15:16], v[40:41], v[110:111]
	v_mul_f64 v[29:30], v[40:41], v[104:105]
	;; [unrolled: 1-line block ×8, first 2 shown]
	v_fma_f64 v[27:28], v[88:89], v[29:30], v[27:28]
	v_mul_f64 v[30:31], v[40:41], v[44:45]
	buffer_store_dword v27, off, s[44:47], 0 offset:892 ; 4-byte Folded Spill
	buffer_store_dword v28, off, s[44:47], 0 offset:896 ; 4-byte Folded Spill
	v_mul_f64 v[30:31], v[32:33], v[30:31]
	v_mul_f64 v[30:31], v[88:89], v[30:31]
	v_fma_f64 v[10:11], v[10:11], v[15:16], v[30:31]
	buffer_store_dword v10, off, s[44:47], 0 offset:304 ; 4-byte Folded Spill
	buffer_store_dword v11, off, s[44:47], 0 offset:308 ; 4-byte Folded Spill
	s_clause 0x3
	buffer_load_dword v10, off, s[44:47], 0 offset:924
	buffer_load_dword v11, off, s[44:47], 0 offset:928
	buffer_load_dword v27, off, s[44:47], 0 offset:224
	buffer_load_dword v28, off, s[44:47], 0 offset:228
	v_mul_f64 v[30:31], v[38:39], v[32:33]
	v_mul_f64 v[30:31], v[32:33], v[30:31]
	s_waitcnt vmcnt(2)
	v_add_f64 v[15:16], v[100:101], -v[10:11]
	s_waitcnt vmcnt(0)
	v_add_f64 v[36:37], v[76:77], -v[27:28]
	s_clause 0x3
	buffer_load_dword v27, off, s[44:47], 0 offset:916
	buffer_load_dword v28, off, s[44:47], 0 offset:920
	;; [unrolled: 1-line block ×4, first 2 shown]
	v_mul_f64 v[15:16], v[15:16], s[0:1]
	v_fma_f64 v[15:16], v[36:37], s[2:3], -v[15:16]
	s_waitcnt vmcnt(0)
	v_add_f64 v[48:49], v[32:33], -v[27:28]
	s_clause 0x1
	buffer_load_dword v27, off, s[44:47], 0 offset:208
	buffer_load_dword v28, off, s[44:47], 0 offset:212
	v_mul_f64 v[48:49], v[48:49], s[0:1]
	s_waitcnt vmcnt(0)
	v_add_f64 v[36:37], v[74:75], -v[27:28]
	v_fma_f64 v[36:37], v[36:37], s[2:3], -v[48:49]
	v_mul_f64 v[48:49], v[12:13], v[53:54]
	v_mul_f64 v[48:49], v[53:54], v[48:49]
	v_mov_b32_e32 v53, v62
	v_mov_b32_e32 v54, v63
	;; [unrolled: 1-line block ×4, first 2 shown]
	v_mul_f64 v[36:37], v[48:49], v[36:37]
	v_fma_f64 v[10:11], v[30:31], v[15:16], -v[36:37]
	buffer_store_dword v10, off, s[44:47], 0 offset:200 ; 4-byte Folded Spill
	buffer_store_dword v11, off, s[44:47], 0 offset:204 ; 4-byte Folded Spill
	s_clause 0x5
	buffer_load_dword v27, off, s[44:47], 0 offset:384
	buffer_load_dword v28, off, s[44:47], 0 offset:388
	;; [unrolled: 1-line block ×6, first 2 shown]
	s_waitcnt vmcnt(4)
	v_mul_f64 v[34:35], v[27:28], v[42:43]
	s_waitcnt vmcnt(2)
	v_mul_f64 v[30:31], v[10:11], v[102:103]
	;; [unrolled: 2-line block ×3, first 2 shown]
	v_mul_f64 v[48:49], v[10:11], v[108:109]
	v_mul_f64 v[76:77], v[10:11], v[42:43]
	s_clause 0x3
	buffer_load_dword v10, off, s[44:47], 0 offset:352
	buffer_load_dword v11, off, s[44:47], 0 offset:356
	;; [unrolled: 1-line block ×4, first 2 shown]
	v_mul_f64 v[15:16], v[27:28], v[102:103]
	s_waitcnt vmcnt(0)
	v_mov_b32_e32 v10, v12
	v_mov_b32_e32 v11, v13
	v_mul_f64 v[12:13], v[10:11], v[34:35]
	buffer_store_dword v12, off, s[44:47], 0 offset:208 ; 4-byte Folded Spill
	buffer_store_dword v13, off, s[44:47], 0 offset:212 ; 4-byte Folded Spill
	v_mul_f64 v[12:13], v[10:11], v[76:77]
	v_mul_f64 v[98:99], v[27:28], v[10:11]
	buffer_store_dword v12, off, s[44:47], 0 offset:224 ; 4-byte Folded Spill
	buffer_store_dword v13, off, s[44:47], 0 offset:228 ; 4-byte Folded Spill
	v_mul_f64 v[88:89], v[10:11], v[36:37]
	v_mul_f64 v[36:37], v[10:11], v[15:16]
	;; [unrolled: 1-line block ×5, first 2 shown]
	s_clause 0x3
	buffer_load_dword v10, off, s[44:47], 0 offset:232
	buffer_load_dword v11, off, s[44:47], 0 offset:236
	;; [unrolled: 1-line block ×4, first 2 shown]
	v_mul_f64 v[48:49], v[82:83], v[55:56]
	v_mul_f64 v[48:49], v[55:56], v[48:49]
	s_waitcnt vmcnt(0)
	v_add_f64 v[76:77], v[12:13], -v[10:11]
	s_clause 0x3
	buffer_load_dword v10, off, s[44:47], 0 offset:900
	buffer_load_dword v11, off, s[44:47], 0 offset:904
	buffer_load_dword v12, off, s[44:47], 0 offset:908
	buffer_load_dword v13, off, s[44:47], 0 offset:912
	v_mul_f64 v[76:77], v[76:77], s[0:1]
	s_waitcnt vmcnt(0)
	v_add_f64 v[98:99], v[12:13], -v[10:11]
	s_clause 0x3
	buffer_load_dword v10, off, s[44:47], 0 offset:192
	buffer_load_dword v11, off, s[44:47], 0 offset:196
	buffer_load_dword v12, off, s[44:47], 0 offset:176
	buffer_load_dword v13, off, s[44:47], 0 offset:180
	;; [unrolled: 8-line block ×3, first 2 shown]
	v_fma_f64 v[98:99], v[104:105], s[2:3], -v[98:99]
	s_waitcnt vmcnt(0)
	v_add_f64 v[108:109], v[12:13], -v[10:11]
	v_fma_f64 v[76:77], v[108:109], s[2:3], -v[76:77]
	v_mul_f64 v[48:49], v[48:49], v[76:77]
	v_fma_f64 v[10:11], v[15:16], v[98:99], -v[48:49]
	buffer_store_dword v10, off, s[44:47], 0 offset:112 ; 4-byte Folded Spill
	buffer_store_dword v11, off, s[44:47], 0 offset:116 ; 4-byte Folded Spill
	s_clause 0x3
	buffer_load_dword v10, off, s[44:47], 0 offset:104
	buffer_load_dword v11, off, s[44:47], 0 offset:108
	;; [unrolled: 1-line block ×4, first 2 shown]
	s_waitcnt vmcnt(0)
	v_add_f64 v[48:49], v[10:11], -v[12:13]
	s_clause 0x3
	buffer_load_dword v10, off, s[44:47], 0 offset:128
	buffer_load_dword v11, off, s[44:47], 0 offset:132
	;; [unrolled: 1-line block ×4, first 2 shown]
	v_mul_f64 v[48:49], v[48:49], s[0:1]
	s_waitcnt vmcnt(0)
	v_add_f64 v[76:77], v[12:13], -v[10:11]
	s_clause 0x1
	buffer_load_dword v10, off, s[44:47], 0 offset:152
	buffer_load_dword v11, off, s[44:47], 0 offset:156
	v_mul_f64 v[76:77], v[76:77], s[0:1]
	s_waitcnt vmcnt(0)
	v_add_f64 v[98:99], v[10:11], -v[46:47]
	s_clause 0x1
	buffer_load_dword v10, off, s[44:47], 0 offset:144
	buffer_load_dword v11, off, s[44:47], 0 offset:148
	v_fma_f64 v[76:77], v[98:99], s[2:3], -v[76:77]
	s_waitcnt vmcnt(0)
	v_add_f64 v[104:105], v[10:11], -v[66:67]
	s_clause 0x1
	buffer_load_dword v10, off, s[44:47], 0 offset:560
	buffer_load_dword v11, off, s[44:47], 0 offset:564
	v_fma_f64 v[48:49], v[104:105], s[2:3], -v[48:49]
	s_waitcnt vmcnt(0)
	v_mul_f64 v[48:49], v[10:11], v[48:49]
	s_clause 0x1
	buffer_load_dword v10, off, s[44:47], 0 offset:568
	buffer_load_dword v11, off, s[44:47], 0 offset:572
	s_waitcnt vmcnt(0)
	v_fma_f64 v[10:11], v[10:11], v[76:77], -v[48:49]
	buffer_store_dword v10, off, s[44:47], 0 offset:104 ; 4-byte Folded Spill
	buffer_store_dword v11, off, s[44:47], 0 offset:108 ; 4-byte Folded Spill
	s_clause 0x3
	buffer_load_dword v10, off, s[44:47], 0 offset:64
	buffer_load_dword v11, off, s[44:47], 0 offset:68
	;; [unrolled: 1-line block ×4, first 2 shown]
	s_waitcnt vmcnt(0)
	v_add_f64 v[48:49], v[10:11], -v[12:13]
	s_clause 0x3
	buffer_load_dword v10, off, s[44:47], 0 offset:56
	buffer_load_dword v11, off, s[44:47], 0 offset:60
	;; [unrolled: 1-line block ×4, first 2 shown]
	v_mul_f64 v[48:49], v[48:49], s[0:1]
	s_waitcnt vmcnt(0)
	v_add_f64 v[76:77], v[10:11], -v[12:13]
	s_clause 0x3
	buffer_load_dword v10, off, s[44:47], 0 offset:88
	buffer_load_dword v11, off, s[44:47], 0 offset:92
	;; [unrolled: 1-line block ×4, first 2 shown]
	v_mul_f64 v[76:77], v[76:77], s[0:1]
	s_waitcnt vmcnt(0)
	v_add_f64 v[98:99], v[10:11], -v[12:13]
	s_clause 0x3
	buffer_load_dword v10, off, s[44:47], 0 offset:80
	buffer_load_dword v11, off, s[44:47], 0 offset:84
	buffer_load_dword v12, off, s[44:47], 0 offset:216
	buffer_load_dword v13, off, s[44:47], 0 offset:220
	v_fma_f64 v[76:77], v[98:99], s[2:3], -v[76:77]
	s_waitcnt vmcnt(0)
	v_add_f64 v[108:109], v[10:11], -v[12:13]
	s_clause 0x1
	buffer_load_dword v10, off, s[44:47], 0 offset:536
	buffer_load_dword v11, off, s[44:47], 0 offset:540
	v_fma_f64 v[48:49], v[108:109], s[2:3], -v[48:49]
	s_waitcnt vmcnt(0)
	v_mul_f64 v[48:49], v[10:11], v[48:49]
	s_clause 0x3
	buffer_load_dword v10, off, s[44:47], 0 offset:544
	buffer_load_dword v11, off, s[44:47], 0 offset:548
	;; [unrolled: 1-line block ×4, first 2 shown]
	s_waitcnt vmcnt(2)
	v_fma_f64 v[102:103], v[10:11], v[76:77], -v[48:49]
	s_clause 0x7
	buffer_load_dword v10, off, s[44:47], 0 offset:748
	buffer_load_dword v11, off, s[44:47], 0 offset:752
	buffer_load_dword v27, off, s[44:47], 0 offset:756
	buffer_load_dword v28, off, s[44:47], 0 offset:760
	buffer_load_dword v15, off, s[44:47], 0 offset:740
	buffer_load_dword v16, off, s[44:47], 0 offset:744
	buffer_load_dword v12, off, s[44:47], 0 offset:732
	buffer_load_dword v13, off, s[44:47], 0 offset:736
	s_waitcnt vmcnt(8)
	v_mul_f64 v[48:49], v[6:7], v[32:33]
	v_mul_f64 v[48:49], v[32:33], v[48:49]
	;; [unrolled: 1-line block ×3, first 2 shown]
	s_waitcnt vmcnt(4)
	v_fma_f64 v[76:77], v[10:11], 2.0, v[27:28]
	s_waitcnt vmcnt(0)
	v_fma_f64 v[116:117], v[12:13], v[12:13], v[48:49]
	v_mul_f64 v[46:47], v[12:13], v[12:13]
	v_mul_f64 v[108:109], v[76:77], v[15:16]
	;; [unrolled: 1-line block ×5, first 2 shown]
	v_fma_f64 v[108:109], v[2:3], v[108:109], v[116:117]
	v_mul_f64 v[116:117], v[2:3], v[15:16]
	v_mul_f64 v[116:117], v[15:16], v[116:117]
	v_fma_f64 v[46:47], v[2:3], v[116:117], v[46:47]
	v_fma_f64 v[48:49], v[2:3], v[116:117], v[48:49]
	v_mul_f64 v[116:117], v[76:77], v[32:33]
	v_mul_f64 v[76:77], v[76:77], v[12:13]
	;; [unrolled: 1-line block ×5, first 2 shown]
	v_fma_f64 v[48:49], v[12:13], v[76:77], v[48:49]
	v_mul_f64 v[116:117], v[32:33], v[116:117]
	v_fma_f64 v[46:47], v[6:7], v[116:117], v[46:47]
	v_add_f64 v[116:117], v[10:11], v[27:28]
	s_clause 0x3
	buffer_load_dword v10, off, s[44:47], 0 offset:708
	buffer_load_dword v11, off, s[44:47], 0 offset:712
	;; [unrolled: 1-line block ×4, first 2 shown]
	s_waitcnt vmcnt(2)
	v_mul_f64 v[76:77], v[10:11], v[116:117]
	v_mul_f64 v[82:83], v[10:11], v[108:109]
	;; [unrolled: 1-line block ×6, first 2 shown]
	s_waitcnt vmcnt(0)
	v_mul_f64 v[82:83], v[27:28], v[82:83]
	v_mul_f64 v[46:47], v[27:28], v[46:47]
	;; [unrolled: 1-line block ×5, first 2 shown]
	s_clause 0x5
	buffer_load_dword v12, off, s[44:47], 0 offset:716
	buffer_load_dword v13, off, s[44:47], 0 offset:720
	;; [unrolled: 1-line block ×6, first 2 shown]
	v_mul_f64 v[108:109], v[53:54], v[116:117]
	s_waitcnt vmcnt(4)
	v_mul_f64 v[82:83], v[12:13], v[82:83]
	s_waitcnt vmcnt(2)
	;; [unrolled: 2-line block ×3, first 2 shown]
	v_mul_f64 v[76:77], v[55:56], v[76:77]
	v_fma_f64 v[82:83], v[74:75], v[15:16], v[82:83]
	v_fma_f64 v[46:47], v[74:75], v[12:13], v[46:47]
	v_mul_f64 v[74:75], v[76:77], v[15:16]
	s_clause 0x1
	buffer_load_dword v15, off, s[44:47], 0 offset:700
	buffer_load_dword v16, off, s[44:47], 0 offset:704
	v_fma_f64 v[74:75], v[12:13], v[108:109], v[74:75]
	v_mul_f64 v[11:12], v[27:28], v[48:49]
	s_waitcnt vmcnt(0)
	v_fma_f64 v[10:11], v[15:16], v[11:12], v[74:75]
	buffer_store_dword v10, off, s[44:47], 0 offset:56 ; 4-byte Folded Spill
	buffer_store_dword v11, off, s[44:47], 0 offset:60 ; 4-byte Folded Spill
	s_clause 0x1
	buffer_load_dword v10, off, s[44:47], 0 offset:656
	buffer_load_dword v11, off, s[44:47], 0 offset:660
	v_fma_f64 v[96:97], v[108:109], v[15:16], v[82:83]
	v_fma_f64 v[82:83], v[76:77], v[15:16], v[46:47]
	s_waitcnt vmcnt(1)
	v_add_co_u32 v46, vcc_lo, s22, v10
	s_waitcnt vmcnt(0)
	v_add_co_ci_u32_e64 v47, null, s23, v11, vcc_lo
	s_clause 0x1
	buffer_load_dword v10, off, s[44:47], 0 offset:640
	buffer_load_dword v11, off, s[44:47], 0 offset:644
	s_waitcnt vmcnt(1)
	v_add_co_u32 v48, vcc_lo, s22, v10
	s_waitcnt vmcnt(0)
	v_add_co_ci_u32_e64 v49, null, s23, v11, vcc_lo
	s_clause 0x1
	buffer_load_dword v10, off, s[44:47], 0 offset:672
	buffer_load_dword v11, off, s[44:47], 0 offset:676
	s_waitcnt vmcnt(1)
	v_add_co_u32 v76, vcc_lo, s22, v10
	s_waitcnt vmcnt(0)
	v_add_co_ci_u32_e64 v77, null, s23, v11, vcc_lo
	s_clause 0x1
	buffer_load_dword v10, off, s[44:47], 0 offset:648
	buffer_load_dword v11, off, s[44:47], 0 offset:652
	s_waitcnt vmcnt(1)
	v_add_co_u32 v116, vcc_lo, s22, v10
	buffer_load_dword v10, off, s[44:47], 0 offset:480 ; 4-byte Folded Reload
	s_waitcnt vmcnt(1)
	v_add_co_ci_u32_e64 v117, null, s23, v11, vcc_lo
	s_waitcnt vmcnt(0)
	v_add_nc_u32_e32 v74, s6, v10
	buffer_load_dword v10, off, s[44:47], 0 offset:516 ; 4-byte Folded Reload
	v_ashrrev_i32_e32 v75, 31, v74
	v_lshlrev_b64 v[74:75], 3, v[74:75]
	v_add_co_u32 v74, vcc_lo, s22, v74
	v_add_co_ci_u32_e64 v75, null, s23, v75, vcc_lo
	s_waitcnt vmcnt(0)
	v_add_nc_u32_e32 v66, s6, v10
	buffer_load_dword v10, off, s[44:47], 0 offset:492 ; 4-byte Folded Reload
	v_ashrrev_i32_e32 v67, 31, v66
	v_lshlrev_b64 v[66:67], 3, v[66:67]
	v_add_co_u32 v66, vcc_lo, s22, v66
	v_add_co_ci_u32_e64 v67, null, s23, v67, vcc_lo
	s_waitcnt vmcnt(0)
	v_add_nc_u32_e32 v11, s6, v10
	v_ashrrev_i32_e32 v12, 31, v11
	v_lshlrev_b64 v[11:12], 3, v[11:12]
	v_add_co_u32 v11, vcc_lo, s22, v11
	v_add_co_ci_u32_e64 v12, null, s23, v12, vcc_lo
	s_clause 0x4
	global_load_dwordx2 v[46:47], v[46:47], off
	global_load_dwordx2 v[98:99], v[74:75], off
	;; [unrolled: 1-line block ×5, first 2 shown]
	s_clause 0x5
	buffer_load_dword v10, off, s[44:47], 0 offset:600
	buffer_load_dword v11, off, s[44:47], 0 offset:604
	;; [unrolled: 1-line block ×4, first 2 shown]
	buffer_load_dword v110, off, s[44:47], 0
	buffer_load_dword v111, off, s[44:47], 0 offset:4
	s_waitcnt vmcnt(4)
	v_mul_f64 v[74:75], v[10:11], v[46:47]
	s_clause 0x3
	buffer_load_dword v10, off, s[44:47], 0 offset:264
	buffer_load_dword v11, off, s[44:47], 0 offset:268
	;; [unrolled: 1-line block ×4, first 2 shown]
	s_waitcnt vmcnt(6)
	v_mul_f64 v[46:47], v[15:16], v[46:47]
	v_mul_f64 v[42:43], v[15:16], v[98:99]
	s_waitcnt vmcnt(4)
	v_mul_f64 v[46:47], v[110:111], v[46:47]
	v_mul_f64 v[42:43], v[110:111], v[42:43]
	;; [unrolled: 1-line block ×5, first 2 shown]
	s_waitcnt vmcnt(2)
	v_fma_f64 v[108:109], v[10:11], v[40:41], v[42:43]
	s_clause 0x1
	global_load_dwordx2 v[40:41], v[76:77], off
	global_load_dwordx2 v[116:117], v[116:117], off
	s_clause 0x3
	buffer_load_dword v27, off, s[44:47], 0 offset:592
	buffer_load_dword v28, off, s[44:47], 0 offset:596
	;; [unrolled: 1-line block ×4, first 2 shown]
	v_mul_f64 v[46:47], v[10:11], v[46:47]
	v_mul_f64 v[46:47], v[55:56], v[46:47]
	s_waitcnt vmcnt(2)
	v_mul_f64 v[76:77], v[27:28], v[40:41]
	s_waitcnt vmcnt(0)
	v_mul_f64 v[40:41], v[42:43], v[40:41]
	v_mul_f64 v[44:45], v[42:43], v[104:105]
	s_clause 0x1
	buffer_load_dword v27, off, s[44:47], 0 offset:32
	buffer_load_dword v28, off, s[44:47], 0 offset:36
	v_mul_f64 v[40:41], v[122:123], v[40:41]
	v_mul_f64 v[44:45], v[122:123], v[44:45]
	;; [unrolled: 1-line block ×5, first 2 shown]
	v_fma_f64 v[44:45], v[12:13], v[72:73], v[44:45]
	v_mul_f64 v[72:73], v[110:111], v[74:75]
	v_mul_f64 v[74:75], v[62:63], v[76:77]
	;; [unrolled: 1-line block ×6, first 2 shown]
	s_clause 0x1
	buffer_load_dword v10, off, s[44:47], 0 offset:680
	buffer_load_dword v11, off, s[44:47], 0 offset:684
	v_mul_f64 v[74:75], v[12:13], v[74:75]
	v_mul_f64 v[72:73], v[55:56], v[72:73]
	s_waitcnt vmcnt(2)
	v_mul_f64 v[76:77], v[27:28], v[48:49]
	v_mul_f64 v[48:49], v[15:16], v[48:49]
	;; [unrolled: 1-line block ×4, first 2 shown]
	v_fma_f64 v[72:73], v[118:119], v[76:77], v[72:73]
	v_fma_f64 v[46:47], v[60:61], v[48:49], v[46:47]
	v_mul_f64 v[59:60], v[55:56], v[74:75]
	s_waitcnt vmcnt(1)
	v_add_co_u32 v76, vcc_lo, s22, v10
	s_waitcnt vmcnt(0)
	v_add_co_ci_u32_e64 v77, null, s23, v11, vcc_lo
	s_clause 0x1
	buffer_load_dword v10, off, s[44:47], 0 offset:632
	buffer_load_dword v11, off, s[44:47], 0 offset:636
	s_waitcnt vmcnt(1)
	v_add_co_u32 v118, vcc_lo, s22, v10
	buffer_load_dword v10, off, s[44:47], 0 offset:496 ; 4-byte Folded Reload
	s_waitcnt vmcnt(1)
	v_add_co_ci_u32_e64 v119, null, s23, v11, vcc_lo
	s_clause 0x1
	global_load_dwordx2 v[76:77], v[76:77], off
	global_load_dwordx2 v[118:119], v[118:119], off
	s_waitcnt vmcnt(2)
	v_add_nc_u32_e32 v38, s6, v10
	s_clause 0x7
	buffer_load_dword v10, off, s[44:47], 0 offset:584
	buffer_load_dword v11, off, s[44:47], 0 offset:588
	buffer_load_dword v12, off, s[44:47], 0 offset:16
	buffer_load_dword v13, off, s[44:47], 0 offset:20
	buffer_load_dword v100, off, s[44:47], 0 offset:256
	buffer_load_dword v101, off, s[44:47], 0 offset:260
	buffer_load_dword v122, off, s[44:47], 0 offset:48
	buffer_load_dword v123, off, s[44:47], 0 offset:52
	v_ashrrev_i32_e32 v39, 31, v38
	s_mov_b32 s6, -1
	v_lshlrev_b64 v[38:39], 3, v[38:39]
	v_add_co_u32 v38, vcc_lo, s22, v38
	v_add_co_ci_u32_e64 v39, null, s23, v39, vcc_lo
	global_load_dwordx2 v[38:39], v[38:39], off
	s_waitcnt vmcnt(7)
	v_mul_f64 v[32:33], v[10:11], v[76:77]
	s_clause 0x1
	buffer_load_dword v10, off, s[44:47], 0 offset:484
	buffer_load_dword v11, off, s[44:47], 0 offset:488
	s_waitcnt vmcnt(3)
	v_mul_f64 v[106:107], v[122:123], v[118:119]
	v_mul_f64 v[32:33], v[12:13], v[32:33]
	;; [unrolled: 1-line block ×6, first 2 shown]
	v_fma_f64 v[32:33], v[90:91], v[106:107], v[32:33]
	s_waitcnt vmcnt(0)
	v_mul_f64 v[76:77], v[10:11], v[76:77]
	v_mul_f64 v[106:107], v[10:11], v[118:119]
	v_mul_f64 v[118:119], v[10:11], v[38:39]
	v_mul_f64 v[38:39], v[122:123], v[38:39]
	v_mul_f64 v[76:77], v[12:13], v[76:77]
	v_mul_f64 v[106:107], v[12:13], v[106:107]
	v_mul_f64 v[118:119], v[12:13], v[118:119]
	v_mul_f64 v[90:91], v[90:91], v[76:77]
	v_mul_f64 v[76:77], v[70:71], v[76:77]
	v_mul_f64 v[118:119], v[64:65], v[118:119]
	v_mul_f64 v[90:91], v[100:101], v[90:91]
	v_fma_f64 v[76:77], v[100:101], v[76:77], v[118:119]
	v_mov_b32_e32 v119, v13
	v_mov_b32_e32 v118, v12
	s_clause 0x3
	buffer_load_dword v12, off, s[44:47], 0 offset:24
	buffer_load_dword v13, off, s[44:47], 0 offset:28
	;; [unrolled: 1-line block ×4, first 2 shown]
	v_mul_f64 v[38:39], v[118:119], v[38:39]
	v_mul_f64 v[90:91], v[55:56], v[90:91]
	;; [unrolled: 1-line block ×3, first 2 shown]
	v_fma_f64 v[64:65], v[64:65], v[106:107], v[90:91]
	s_waitcnt vmcnt(2)
	v_mul_f64 v[48:49], v[12:13], v[116:117]
	v_mul_f64 v[48:49], v[62:63], v[48:49]
	v_fma_f64 v[17:18], v[18:19], v[48:49], v[59:60]
	v_mul_f64 v[19:20], v[112:113], v[36:37]
	s_waitcnt vmcnt(0)
	v_mul_f64 v[36:37], v[114:115], v[10:11]
	s_clause 0x1
	buffer_load_dword v10, off, s[44:47], 0 offset:208
	buffer_load_dword v11, off, s[44:47], 0 offset:212
	v_mul_f64 v[48:49], v[4:5], v[88:89]
	v_mul_f64 v[19:20], v[6:7], v[19:20]
	v_fma_f64 v[19:20], v[114:115], v[48:49], v[19:20]
	v_mul_f64 v[48:49], v[112:113], v[30:31]
	v_mul_f64 v[29:30], v[92:93], v[30:31]
	v_fma_f64 v[31:32], v[55:56], v[38:39], v[32:33]
	;; [unrolled: 3-line block ×3, first 2 shown]
	v_mul_f64 v[48:49], v[53:54], v[48:49]
	v_fma_f64 v[34:35], v[114:115], v[34:35], v[48:49]
	s_waitcnt vmcnt(0)
	v_fma_f64 v[19:20], v[92:93], v[10:11], v[19:20]
	s_clause 0x1
	buffer_load_dword v10, off, s[44:47], 0 offset:664
	buffer_load_dword v11, off, s[44:47], 0 offset:668
	s_waitcnt vmcnt(1)
	v_add_co_u32 v29, vcc_lo, s22, v10
	s_waitcnt vmcnt(0)
	v_add_co_ci_u32_e64 v30, null, s23, v11, vcc_lo
	s_clause 0x1
	buffer_load_dword v10, off, s[44:47], 0 offset:624
	buffer_load_dword v11, off, s[44:47], 0 offset:628
	s_waitcnt vmcnt(1)
	v_add_co_u32 v36, vcc_lo, s22, v10
	s_waitcnt vmcnt(0)
	v_add_co_ci_u32_e64 v37, null, s23, v11, vcc_lo
	s_clause 0x3
	buffer_load_dword v10, off, s[44:47], 0 offset:500
	buffer_load_dword v11, off, s[44:47], 0 offset:504
	;; [unrolled: 1-line block ×4, first 2 shown]
	s_waitcnt vmcnt(0)
	v_add_f64 v[48:49], v[15:16], -v[10:11]
	s_clause 0x1
	buffer_load_dword v10, off, s[44:47], 0 offset:508
	buffer_load_dword v11, off, s[44:47], 0 offset:512
	v_mul_f64 v[40:41], v[48:49], s[0:1]
	s_waitcnt vmcnt(0)
	v_add_f64 v[4:5], v[4:5], -v[10:11]
	s_clause 0x1
	buffer_load_dword v10, off, s[44:47], 0 offset:416
	buffer_load_dword v11, off, s[44:47], 0 offset:420
	v_fma_f64 v[4:5], v[4:5], s[2:3], -v[40:41]
	s_waitcnt vmcnt(0)
	v_mul_f64 v[59:60], v[10:11], s[0:1]
	s_clause 0x1
	buffer_load_dword v10, off, s[44:47], 0 offset:552
	buffer_load_dword v11, off, s[44:47], 0 offset:556
	s_waitcnt vmcnt(0)
	v_fma_f64 v[59:60], v[10:11], s[2:3], -v[59:60]
	s_clause 0x1
	buffer_load_dword v10, off, s[44:47], 0 offset:576
	buffer_load_dword v11, off, s[44:47], 0 offset:580
	s_waitcnt vmcnt(0)
	v_mul_f64 v[74:75], v[10:11], s[0:1]
	s_clause 0x1
	buffer_load_dword v10, off, s[44:47], 0 offset:608
	buffer_load_dword v11, off, s[44:47], 0 offset:612
	s_waitcnt vmcnt(0)
	v_fma_f64 v[74:75], v[10:11], s[2:3], -v[74:75]
	s_clause 0x3
	buffer_load_dword v10, off, s[44:47], 0 offset:616
	buffer_load_dword v11, off, s[44:47], 0 offset:620
	;; [unrolled: 1-line block ×4, first 2 shown]
	s_waitcnt vmcnt(0)
	v_add_f64 v[88:89], v[15:16], -v[10:11]
	s_clause 0x3
	buffer_load_dword v10, off, s[44:47], 0 offset:456
	buffer_load_dword v11, off, s[44:47], 0 offset:460
	;; [unrolled: 1-line block ×4, first 2 shown]
	v_mul_f64 v[48:49], v[88:89], s[0:1]
	s_waitcnt vmcnt(0)
	v_add_f64 v[90:91], v[15:16], -v[10:11]
	s_clause 0x1
	buffer_load_dword v10, off, s[44:47], 0 offset:400
	buffer_load_dword v11, off, s[44:47], 0 offset:404
	v_mul_f64 v[15:16], v[27:28], v[98:99]
	v_mul_f64 v[15:16], v[110:111], v[15:16]
	;; [unrolled: 1-line block ×3, first 2 shown]
	v_fma_f64 v[15:16], v[55:56], v[15:16], v[72:73]
	v_add_f64 v[15:16], v[31:32], -v[15:16]
	v_mul_f64 v[15:16], v[15:16], s[0:1]
	s_waitcnt vmcnt(0)
	v_add_f64 v[19:20], v[19:20], -v[10:11]
	s_clause 0x1
	buffer_load_dword v10, off, s[44:47], 0 offset:884
	buffer_load_dword v11, off, s[44:47], 0 offset:888
	v_fma_f64 v[19:20], v[19:20], s[2:3], -v[48:49]
	s_waitcnt vmcnt(0)
	v_add_f64 v[34:35], v[34:35], -v[10:11]
	s_clause 0x1
	buffer_load_dword v10, off, s[44:47], 0 offset:200
	buffer_load_dword v11, off, s[44:47], 0 offset:204
	s_waitcnt vmcnt(0)
	v_mul_f64 v[92:93], v[10:11], s[0:1]
	s_clause 0x1
	buffer_load_dword v10, off, s[44:47], 0 offset:112
	buffer_load_dword v11, off, s[44:47], 0 offset:116
	s_waitcnt vmcnt(0)
	v_fma_f64 v[100:101], v[10:11], s[2:3], -v[92:93]
	s_clause 0x1
	buffer_load_dword v10, off, s[44:47], 0 offset:876
	buffer_load_dword v11, off, s[44:47], 0 offset:880
	s_waitcnt vmcnt(0)
	v_add_f64 v[82:83], v[10:11], v[82:83]
	s_clause 0x1
	buffer_load_dword v10, off, s[44:47], 0 offset:852
	buffer_load_dword v11, off, s[44:47], 0 offset:856
	v_add_f64 v[74:75], v[82:83], v[74:75]
	s_waitcnt vmcnt(0)
	v_add_f64 v[92:93], v[10:11], v[96:97]
	s_clause 0x1
	buffer_load_dword v10, off, s[44:47], 0 offset:104
	buffer_load_dword v11, off, s[44:47], 0 offset:108
	s_clause 0x1
	global_load_dwordx2 v[29:30], v[29:30], off
	global_load_dwordx2 v[36:37], v[36:37], off
	v_add_f64 v[59:60], v[92:93], v[59:60]
	s_waitcnt vmcnt(2)
	v_mul_f64 v[96:97], v[10:11], s[0:1]
	s_clause 0x1
	buffer_load_dword v10, off, s[44:47], 0 offset:528
	buffer_load_dword v11, off, s[44:47], 0 offset:532
	v_fma_f64 v[96:97], v[102:103], s[2:3], -v[96:97]
	v_mul_f64 v[102:103], v[42:43], v[116:117]
	v_add_f64 v[40:41], v[96:97], v[74:75]
	v_mul_f64 v[102:103], v[62:63], v[102:103]
	v_fma_f64 v[0:1], v[0:1], v[102:103], v[38:39]
	v_add_f64 v[38:39], v[64:65], -v[46:47]
	s_waitcnt vmcnt(0)
	v_mul_f64 v[82:83], v[10:11], v[29:30]
	s_clause 0x5
	buffer_load_dword v10, off, s[44:47], 0 offset:440
	buffer_load_dword v11, off, s[44:47], 0 offset:444
	;; [unrolled: 1-line block ×6, first 2 shown]
	s_waitcnt vmcnt(4)
	v_mul_f64 v[92:93], v[10:11], v[36:37]
	s_waitcnt vmcnt(2)
	v_mul_f64 v[36:37], v[27:28], v[36:37]
	v_mul_f64 v[98:99], v[27:28], v[66:67]
	s_clause 0x1
	buffer_load_dword v27, off, s[44:47], 0 offset:56
	buffer_load_dword v28, off, s[44:47], 0 offset:60
	v_mul_f64 v[29:30], v[10:11], v[29:30]
	v_mul_f64 v[66:67], v[10:11], v[66:67]
	buffer_load_dword v10, off, s[44:47], 0 offset:692 ; 4-byte Folded Reload
	s_waitcnt vmcnt(3)
	v_mul_f64 v[82:83], v[42:43], v[82:83]
	v_mul_f64 v[11:12], v[12:13], v[104:105]
	;; [unrolled: 1-line block ×14, first 2 shown]
	v_fma_f64 v[11:12], v[55:56], v[11:12], v[17:18]
	v_add_f64 v[17:18], v[76:77], -v[108:109]
	v_fma_f64 v[36:37], v[94:95], v[36:37], v[70:71]
	v_mul_f64 v[70:71], v[94:95], v[29:30]
	v_mul_f64 v[29:30], v[124:125], v[29:30]
	;; [unrolled: 1-line block ×3, first 2 shown]
	v_fma_f64 v[36:37], v[55:56], v[82:83], v[36:37]
	v_fma_f64 v[29:30], v[8:9], v[29:30], v[66:67]
	v_mul_f64 v[8:9], v[8:9], v[70:71]
	v_mul_f64 v[66:67], v[90:91], s[0:1]
	v_add_f64 v[11:12], v[36:37], -v[11:12]
	v_add_f64 v[29:30], v[29:30], -v[44:45]
	v_mul_f64 v[8:9], v[55:56], v[8:9]
	v_fma_f64 v[31:32], v[34:35], s[2:3], -v[66:67]
	v_fma_f64 v[11:12], v[11:12], s[2:3], -v[15:16]
	;; [unrolled: 1-line block ×3, first 2 shown]
	v_fma_f64 v[8:9], v[80:81], v[92:93], v[8:9]
	v_subrev_nc_u32_e32 v17, s30, v57
	v_add_f64 v[0:1], v[8:9], -v[0:1]
	v_mul_f64 v[8:9], v[38:39], s[0:1]
	v_fma_f64 v[0:1], v[0:1], s[2:3], -v[8:9]
	s_waitcnt vmcnt(1)
	v_add_f64 v[33:34], v[68:69], v[27:28]
	v_add_f64 v[27:28], v[100:101], v[59:60]
	v_fma_f64 v[33:34], v[53:54], v[4:5], v[33:34]
	v_fma_f64 v[19:20], v[53:54], v[19:20], v[27:28]
	v_add_f64 v[4:5], v[40:41], v[31:32]
	v_add_f64 v[8:9], v[19:20], v[0:1]
	v_fma_f64 v[0:1], v[55:56], v[15:16], v[33:34]
	s_waitcnt vmcnt(0)
	v_subrev_nc_u32_e32 v15, s30, v10
	buffer_load_dword v10, off, s[44:47], 0 offset:696 ; 4-byte Folded Reload
	v_add_f64 v[4:5], v[4:5], v[11:12]
	s_waitcnt vmcnt(0)
	v_subrev_nc_u32_e32 v16, s30, v10
	buffer_load_dword v10, off, s[44:47], 0 offset:688 ; 4-byte Folded Reload
	s_waitcnt vmcnt(0)
	v_subrev_nc_u32_e32 v18, s30, v10
.LBB0_10:                               ; =>This Inner Loop Header: Depth=1
	v_add_nc_u32_e32 v10, s33, v17
	v_add_nc_u32_e32 v12, s33, v18
	;; [unrolled: 1-line block ×5, first 2 shown]
	v_ashrrev_i32_e32 v11, 31, v10
	v_ashrrev_i32_e32 v13, 31, v12
	v_ashrrev_i32_e32 v34, 31, v33
	v_ashrrev_i32_e32 v36, 31, v35
	v_add_nc_u32_e32 v37, s33, v86
	v_lshlrev_b64 v[10:11], 3, v[10:11]
	v_lshlrev_b64 v[12:13], 3, v[12:13]
	v_ashrrev_i32_e32 v20, 31, v19
	v_lshlrev_b64 v[65:66], 3, v[33:34]
	v_add_nc_u32_e32 v27, s33, v16
	v_add_nc_u32_e32 v29, s33, v25
	v_add_co_u32 v33, vcc_lo, s18, v10
	v_lshlrev_b64 v[67:68], 3, v[35:36]
	v_add_co_ci_u32_e64 v34, null, s19, v11, vcc_lo
	v_add_co_u32 v35, vcc_lo, s20, v10
	v_ashrrev_i32_e32 v38, 31, v37
	v_lshlrev_b64 v[19:20], 3, v[19:20]
	v_add_co_ci_u32_e64 v36, null, s21, v11, vcc_lo
	v_add_co_u32 v81, vcc_lo, s22, v12
	v_ashrrev_i32_e32 v28, 31, v27
	v_add_co_ci_u32_e64 v82, null, s23, v13, vcc_lo
	v_add_co_u32 v83, vcc_lo, s22, v10
	v_ashrrev_i32_e32 v30, 31, v29
	v_lshlrev_b64 v[69:70], 3, v[37:38]
	v_add_co_ci_u32_e64 v84, null, s23, v11, vcc_lo
	v_add_co_u32 v37, vcc_lo, s16, v10
	v_add_co_ci_u32_e64 v38, null, s17, v11, vcc_lo
	v_add_co_u32 v88, vcc_lo, s22, v19
	v_lshlrev_b64 v[27:28], 3, v[27:28]
	v_lshlrev_b64 v[63:64], 3, v[29:30]
	v_add_co_ci_u32_e64 v89, null, s23, v20, vcc_lo
	v_add_co_u32 v29, vcc_lo, s16, v12
	v_add_co_ci_u32_e64 v30, null, s17, v13, vcc_lo
	v_add_co_u32 v90, vcc_lo, s22, v27
	v_add_co_ci_u32_e64 v91, null, s23, v28, vcc_lo
	s_clause 0x1
	global_load_dwordx4 v[10:13], v[29:30], off offset:8
	global_load_dwordx4 v[27:30], v[29:30], off offset:-16
	v_add_nc_u32_e32 v31, s33, v121
	v_add_nc_u32_e32 v39, s33, v51
	;; [unrolled: 1-line block ×5, first 2 shown]
	v_ashrrev_i32_e32 v32, 31, v31
	v_add_co_u32 v19, vcc_lo, s16, v19
	v_ashrrev_i32_e32 v40, 31, v39
	v_ashrrev_i32_e32 v42, 31, v41
	v_lshlrev_b64 v[31:32], 3, v[31:32]
	v_ashrrev_i32_e32 v44, 31, v43
	v_ashrrev_i32_e32 v46, 31, v45
	v_add_co_ci_u32_e64 v20, null, s17, v20, vcc_lo
	v_add_co_u32 v63, vcc_lo, s16, v63
	v_add_co_ci_u32_e64 v64, null, s17, v64, vcc_lo
	v_add_co_u32 v92, vcc_lo, s16, v31
	v_lshlrev_b64 v[71:72], 3, v[39:40]
	v_lshlrev_b64 v[73:74], 3, v[41:42]
	;; [unrolled: 1-line block ×4, first 2 shown]
	v_add_co_ci_u32_e64 v93, null, s17, v32, vcc_lo
	global_load_dwordx2 v[94:95], v[33:34], off
	global_load_dwordx2 v[96:97], v[35:36], off
	s_clause 0x3
	global_load_dwordx4 v[31:34], v[37:38], off offset:8
	global_load_dwordx4 v[35:38], v[37:38], off offset:-16
	global_load_dwordx4 v[39:42], v[19:20], off offset:8
	global_load_dwordx4 v[43:46], v[19:20], off offset:-16
	s_clause 0x1
	global_load_dwordx2 v[19:20], v[81:82], off
	global_load_dwordx2 v[81:82], v[83:84], off
	v_add_nc_u32_e32 v47, s33, v52
	v_add_co_u32 v65, vcc_lo, s16, v65
	v_add_co_ci_u32_e64 v66, null, s17, v66, vcc_lo
	v_add_co_u32 v67, vcc_lo, s16, v67
	v_ashrrev_i32_e32 v48, 31, v47
	v_add_co_ci_u32_e64 v68, null, s17, v68, vcc_lo
	v_add_co_u32 v69, vcc_lo, s16, v69
	v_add_co_ci_u32_e64 v70, null, s17, v70, vcc_lo
	v_add_co_u32 v71, vcc_lo, s16, v71
	v_lshlrev_b64 v[47:48], 3, v[47:48]
	v_add_co_ci_u32_e64 v72, null, s17, v72, vcc_lo
	v_add_co_u32 v73, vcc_lo, s16, v73
	v_add_co_ci_u32_e64 v74, null, s17, v74, vcc_lo
	v_add_co_u32 v75, vcc_lo, s16, v75
	;; [unrolled: 2-line block ×4, first 2 shown]
	v_add_co_ci_u32_e64 v48, null, s17, v48, vcc_lo
	global_load_dwordx2 v[83:84], v[88:89], off
	s_clause 0x5
	global_load_dwordx2 v[63:64], v[63:64], off
	global_load_dwordx2 v[88:89], v[92:93], off
	;; [unrolled: 1-line block ×6, first 2 shown]
	v_add_nc_u32_e32 v59, s33, v78
	v_add_nc_u32_e32 v61, s33, v58
	;; [unrolled: 1-line block ×5, first 2 shown]
	v_ashrrev_i32_e32 v60, 31, v59
	v_ashrrev_i32_e32 v62, 31, v61
	;; [unrolled: 1-line block ×3, first 2 shown]
	v_add_nc_u32_e32 v58, s25, v58
	v_add_nc_u32_e32 v26, s25, v26
	v_lshlrev_b64 v[59:60], 3, v[59:60]
	v_lshlrev_b64 v[61:62], 3, v[61:62]
	;; [unrolled: 1-line block ×3, first 2 shown]
	v_add_nc_u32_e32 v23, s25, v23
	v_add_nc_u32_e32 v78, s25, v78
	;; [unrolled: 1-line block ×3, first 2 shown]
	v_add_co_u32 v59, vcc_lo, s16, v59
	v_add_co_ci_u32_e64 v60, null, s17, v60, vcc_lo
	v_add_co_u32 v61, vcc_lo, s16, v61
	v_add_co_ci_u32_e64 v62, null, s17, v62, vcc_lo
	global_load_dwordx2 v[90:91], v[90:91], off
	s_clause 0x5
	global_load_dwordx2 v[65:66], v[65:66], off
	global_load_dwordx2 v[67:68], v[67:68], off
	;; [unrolled: 1-line block ×6, first 2 shown]
	v_add_co_u32 v92, vcc_lo, s14, v92
	v_add_co_ci_u32_e64 v93, null, s15, v93, vcc_lo
	v_add_nc_u32_e32 v51, s25, v51
	v_add_nc_u32_e32 v52, s25, v52
	v_add_nc_u32_e32 v25, s25, v25
	global_load_dwordx2 v[92:93], v[92:93], off
	v_add_nc_u32_e32 v86, s25, v86
	v_add_nc_u32_e32 v87, s25, v87
	;; [unrolled: 1-line block ×6, first 2 shown]
	s_add_i32 s6, s6, 6
	s_cmp_eq_u32 s6, 47
	s_waitcnt vmcnt(23)
	v_add_f64 v[12:13], v[12:13], -v[27:28]
	v_add_f64 v[10:11], v[10:11], -v[29:30]
	v_mul_f64 v[12:13], v[12:13], s[0:1]
	s_waitcnt vmcnt(21)
	v_fma_f64 v[27:28], v[94:95], 2.0, v[96:97]
	s_waitcnt vmcnt(19)
	v_add_f64 v[33:34], v[33:34], -v[35:36]
	v_add_f64 v[31:32], v[31:32], -v[37:38]
	s_waitcnt vmcnt(17)
	v_add_f64 v[29:30], v[41:42], -v[43:44]
	s_waitcnt vmcnt(16)
	v_mul_f64 v[35:36], v[94:95], v[19:20]
	v_add_f64 v[37:38], v[39:40], -v[45:46]
	v_fma_f64 v[10:11], v[10:11], s[2:3], -v[12:13]
	v_mul_f64 v[39:40], v[27:28], v[19:20]
	v_mul_f64 v[19:20], v[96:97], v[19:20]
	;; [unrolled: 1-line block ×4, first 2 shown]
	s_waitcnt vmcnt(15)
	v_mul_f64 v[35:36], v[35:36], v[81:82]
	s_waitcnt vmcnt(14)
	v_mul_f64 v[43:44], v[94:95], v[83:84]
	v_mul_f64 v[27:28], v[27:28], v[83:84]
	s_waitcnt vmcnt(12)
	v_add_f64 v[12:13], v[63:64], -v[88:89]
	s_waitcnt vmcnt(10)
	v_add_f64 v[41:42], v[69:70], -v[71:72]
	;; [unrolled: 2-line block ×3, first 2 shown]
	v_mul_f64 v[39:40], v[39:40], v[81:82]
	v_mul_f64 v[19:20], v[19:20], v[81:82]
	v_fma_f64 v[31:32], v[31:32], s[2:3], -v[33:34]
	v_fma_f64 v[29:30], v[37:38], s[2:3], -v[29:30]
	v_mul_f64 v[33:34], v[35:36], v[10:11]
	v_mul_f64 v[43:44], v[81:82], v[43:44]
	;; [unrolled: 1-line block ×4, first 2 shown]
	s_waitcnt vmcnt(7)
	v_mul_f64 v[37:38], v[94:95], v[90:91]
	v_mul_f64 v[41:42], v[41:42], s[0:1]
	s_waitcnt vmcnt(5)
	v_add_f64 v[47:48], v[65:66], -v[67:68]
	v_mul_f64 v[65:66], v[96:97], v[83:84]
	s_waitcnt vmcnt(3)
	v_add_f64 v[63:64], v[73:74], -v[75:76]
	;; [unrolled: 3-line block ×3, first 2 shown]
	v_mul_f64 v[61:62], v[96:97], v[90:91]
	v_mul_f64 v[39:40], v[39:40], v[31:32]
	;; [unrolled: 1-line block ×6, first 2 shown]
	v_fma_f64 v[12:13], v[47:48], s[2:3], -v[12:13]
	v_mul_f64 v[65:66], v[81:82], v[65:66]
	v_fma_f64 v[41:42], v[63:64], s[2:3], -v[41:42]
	v_fma_f64 v[45:46], v[59:60], s[2:3], -v[45:46]
	v_mul_f64 v[61:62], v[81:82], v[61:62]
	v_mul_f64 v[39:40], v[2:3], v[39:40]
	;; [unrolled: 1-line block ×9, first 2 shown]
	v_fma_f64 v[10:11], v[53:54], v[39:40], v[10:11]
	v_mul_f64 v[39:40], v[53:54], v[47:48]
	v_fma_f64 v[31:32], v[65:66], v[31:32], v[33:34]
	v_mul_f64 v[33:34], v[6:7], v[59:60]
	v_mul_f64 v[27:28], v[6:7], v[27:28]
	;; [unrolled: 1-line block ×3, first 2 shown]
	v_fma_f64 v[10:11], v[53:54], v[29:30], v[10:11]
	v_fma_f64 v[29:30], v[53:54], v[63:64], v[39:40]
	;; [unrolled: 1-line block ×3, first 2 shown]
	v_mul_f64 v[31:32], v[37:38], v[45:46]
	v_mul_f64 v[35:36], v[61:62], v[41:42]
	v_fma_f64 v[10:11], v[55:56], v[33:34], v[10:11]
	v_fma_f64 v[29:30], v[55:56], v[43:44], v[29:30]
	;; [unrolled: 1-line block ×6, first 2 shown]
	s_waitcnt vmcnt(0)
	v_fma_f64 v[8:9], v[92:93], v[10:11], v[8:9]
	v_fma_f64 v[0:1], v[92:93], v[19:20], v[0:1]
	;; [unrolled: 1-line block ×3, first 2 shown]
	s_cbranch_scc0 .LBB0_10
; %bb.11:
	s_clause 0x1
	buffer_load_dword v10, off, s[44:47], 0 offset:248
	buffer_load_dword v11, off, s[44:47], 0 offset:252
	v_mul_f64 v[2:3], v[2:3], v[6:7]
	s_load_dwordx4 s[0:3], s[4:5], 0x30
	s_waitcnt lgkmcnt(0)
	v_mul_f64 v[8:9], s[2:3], v[8:9]
	v_mul_f64 v[4:5], s[2:3], v[4:5]
	;; [unrolled: 1-line block ×3, first 2 shown]
	s_waitcnt vmcnt(1)
	v_add_co_u32 v10, vcc_lo, s10, v10
	s_waitcnt vmcnt(0)
	v_add_co_ci_u32_e64 v11, null, s11, v11, vcc_lo
	global_load_dwordx2 v[12:13], v[10:11], off
	s_clause 0x1
	buffer_load_dword v20, off, s[44:47], 0 offset:240
	buffer_load_dword v21, off, s[44:47], 0 offset:244
	s_waitcnt vmcnt(0)
	v_div_scale_f64 v[6:7], null, v[20:21], v[20:21], v[2:3]
	v_div_scale_f64 v[18:19], vcc_lo, v[2:3], v[20:21], v[2:3]
	v_rcp_f64_e32 v[14:15], v[6:7]
	v_fma_f64 v[16:17], -v[6:7], v[14:15], 1.0
	v_fma_f64 v[14:15], v[14:15], v[16:17], v[14:15]
	v_fma_f64 v[16:17], -v[6:7], v[14:15], 1.0
	v_fma_f64 v[14:15], v[14:15], v[16:17], v[14:15]
	v_mul_f64 v[16:17], v[18:19], v[14:15]
	v_fma_f64 v[6:7], -v[6:7], v[16:17], v[18:19]
	v_div_fmas_f64 v[6:7], v[6:7], v[14:15], v[16:17]
	v_div_fixup_f64 v[2:3], v[6:7], v[20:21], v[2:3]
	v_mul_f64 v[6:7], s[0:1], v[12:13]
	v_fma_f64 v[6:7], v[2:3], v[8:9], v[6:7]
	s_clause 0x1
	buffer_load_dword v8, off, s[44:47], 0 offset:368
	buffer_load_dword v9, off, s[44:47], 0 offset:372
	global_store_dwordx2 v[10:11], v[6:7], off
	s_waitcnt vmcnt(1)
	v_add_co_u32 v8, vcc_lo, s10, v8
	s_waitcnt vmcnt(0)
	v_add_co_ci_u32_e64 v9, null, s11, v9, vcc_lo
	global_load_dwordx2 v[6:7], v[8:9], off
	s_waitcnt vmcnt(0)
	v_mul_f64 v[6:7], s[0:1], v[6:7]
	v_fma_f64 v[4:5], v[2:3], v[4:5], v[6:7]
	s_clause 0x1
	buffer_load_dword v6, off, s[44:47], 0 offset:520
	buffer_load_dword v7, off, s[44:47], 0 offset:524
	global_store_dwordx2 v[8:9], v[4:5], off
	s_waitcnt vmcnt(1)
	v_add_co_u32 v6, vcc_lo, s10, v6
	s_waitcnt vmcnt(0)
	v_add_co_ci_u32_e64 v7, null, s11, v7, vcc_lo
	global_load_dwordx2 v[4:5], v[6:7], off
	s_waitcnt vmcnt(0)
	v_mul_f64 v[4:5], s[0:1], v[4:5]
	v_fma_f64 v[0:1], v[2:3], v[0:1], v[4:5]
	global_store_dwordx2 v[6:7], v[0:1], off
.LBB0_12:
	s_endpgm
	.section	.rodata,"a",@progbits
	.p2align	6, 0x0
	.amdhsa_kernel _Z7kernel1iiiiiiiiiiiiddPKdS0_S0_S0_S0_PdS0_S0_S0_S0_S0_S0_S0_
		.amdhsa_group_segment_fixed_size 0
		.amdhsa_private_segment_fixed_size 936
		.amdhsa_kernarg_size 424
		.amdhsa_user_sgpr_count 6
		.amdhsa_user_sgpr_private_segment_buffer 1
		.amdhsa_user_sgpr_dispatch_ptr 0
		.amdhsa_user_sgpr_queue_ptr 0
		.amdhsa_user_sgpr_kernarg_segment_ptr 1
		.amdhsa_user_sgpr_dispatch_id 0
		.amdhsa_user_sgpr_flat_scratch_init 0
		.amdhsa_user_sgpr_private_segment_size 0
		.amdhsa_wavefront_size32 1
		.amdhsa_uses_dynamic_stack 0
		.amdhsa_system_sgpr_private_segment_wavefront_offset 1
		.amdhsa_system_sgpr_workgroup_id_x 1
		.amdhsa_system_sgpr_workgroup_id_y 1
		.amdhsa_system_sgpr_workgroup_id_z 1
		.amdhsa_system_sgpr_workgroup_info 0
		.amdhsa_system_vgpr_workitem_id 2
		.amdhsa_next_free_vgpr 128
		.amdhsa_next_free_sgpr 48
		.amdhsa_reserve_vcc 1
		.amdhsa_reserve_flat_scratch 0
		.amdhsa_float_round_mode_32 0
		.amdhsa_float_round_mode_16_64 0
		.amdhsa_float_denorm_mode_32 3
		.amdhsa_float_denorm_mode_16_64 3
		.amdhsa_dx10_clamp 1
		.amdhsa_ieee_mode 1
		.amdhsa_fp16_overflow 0
		.amdhsa_workgroup_processor_mode 1
		.amdhsa_memory_ordered 1
		.amdhsa_forward_progress 1
		.amdhsa_shared_vgpr_count 0
		.amdhsa_exception_fp_ieee_invalid_op 0
		.amdhsa_exception_fp_denorm_src 0
		.amdhsa_exception_fp_ieee_div_zero 0
		.amdhsa_exception_fp_ieee_overflow 0
		.amdhsa_exception_fp_ieee_underflow 0
		.amdhsa_exception_fp_ieee_inexact 0
		.amdhsa_exception_int_div_zero 0
	.end_amdhsa_kernel
	.text
.Lfunc_end0:
	.size	_Z7kernel1iiiiiiiiiiiiddPKdS0_S0_S0_S0_PdS0_S0_S0_S0_S0_S0_S0_, .Lfunc_end0-_Z7kernel1iiiiiiiiiiiiddPKdS0_S0_S0_S0_PdS0_S0_S0_S0_S0_S0_S0_
                                        ; -- End function
	.set _Z7kernel1iiiiiiiiiiiiddPKdS0_S0_S0_S0_PdS0_S0_S0_S0_S0_S0_S0_.num_vgpr, 128
	.set _Z7kernel1iiiiiiiiiiiiddPKdS0_S0_S0_S0_PdS0_S0_S0_S0_S0_S0_S0_.num_agpr, 0
	.set _Z7kernel1iiiiiiiiiiiiddPKdS0_S0_S0_S0_PdS0_S0_S0_S0_S0_S0_S0_.numbered_sgpr, 48
	.set _Z7kernel1iiiiiiiiiiiiddPKdS0_S0_S0_S0_PdS0_S0_S0_S0_S0_S0_S0_.num_named_barrier, 0
	.set _Z7kernel1iiiiiiiiiiiiddPKdS0_S0_S0_S0_PdS0_S0_S0_S0_S0_S0_S0_.private_seg_size, 936
	.set _Z7kernel1iiiiiiiiiiiiddPKdS0_S0_S0_S0_PdS0_S0_S0_S0_S0_S0_S0_.uses_vcc, 1
	.set _Z7kernel1iiiiiiiiiiiiddPKdS0_S0_S0_S0_PdS0_S0_S0_S0_S0_S0_S0_.uses_flat_scratch, 0
	.set _Z7kernel1iiiiiiiiiiiiddPKdS0_S0_S0_S0_PdS0_S0_S0_S0_S0_S0_S0_.has_dyn_sized_stack, 0
	.set _Z7kernel1iiiiiiiiiiiiddPKdS0_S0_S0_S0_PdS0_S0_S0_S0_S0_S0_S0_.has_recursion, 0
	.set _Z7kernel1iiiiiiiiiiiiddPKdS0_S0_S0_S0_PdS0_S0_S0_S0_S0_S0_S0_.has_indirect_call, 0
	.section	.AMDGPU.csdata,"",@progbits
; Kernel info:
; codeLenInByte = 19404
; TotalNumSgprs: 50
; NumVgprs: 128
; ScratchSize: 936
; MemoryBound: 0
; FloatMode: 240
; IeeeMode: 1
; LDSByteSize: 0 bytes/workgroup (compile time only)
; SGPRBlocks: 0
; VGPRBlocks: 15
; NumSGPRsForWavesPerEU: 50
; NumVGPRsForWavesPerEU: 128
; Occupancy: 8
; WaveLimiterHint : 0
; COMPUTE_PGM_RSRC2:SCRATCH_EN: 1
; COMPUTE_PGM_RSRC2:USER_SGPR: 6
; COMPUTE_PGM_RSRC2:TRAP_HANDLER: 0
; COMPUTE_PGM_RSRC2:TGID_X_EN: 1
; COMPUTE_PGM_RSRC2:TGID_Y_EN: 1
; COMPUTE_PGM_RSRC2:TGID_Z_EN: 1
; COMPUTE_PGM_RSRC2:TIDIG_COMP_CNT: 2
	.text
	.protected	_Z7kernel2iiiiiiiiiiiiddPKdS0_S0_S0_S0_PdS0_S0_S0_S0_S0_S0_S0_ ; -- Begin function _Z7kernel2iiiiiiiiiiiiddPKdS0_S0_S0_S0_PdS0_S0_S0_S0_S0_S0_S0_
	.globl	_Z7kernel2iiiiiiiiiiiiddPKdS0_S0_S0_S0_PdS0_S0_S0_S0_S0_S0_S0_
	.p2align	8
	.type	_Z7kernel2iiiiiiiiiiiiddPKdS0_S0_S0_S0_PdS0_S0_S0_S0_S0_S0_S0_,@function
_Z7kernel2iiiiiiiiiiiiddPKdS0_S0_S0_S0_PdS0_S0_S0_S0_S0_S0_S0_: ; @_Z7kernel2iiiiiiiiiiiiddPKdS0_S0_S0_S0_PdS0_S0_S0_S0_S0_S0_S0_
; %bb.0:
	s_mov_b64 s[38:39], s[2:3]
	s_mov_b64 s[36:37], s[0:1]
	s_clause 0x1
	s_load_dwordx2 s[0:1], s[4:5], 0xb4
	s_load_dwordx8 s[20:27], s[4:5], 0x0
	s_add_u32 s36, s36, s9
	s_addc_u32 s37, s37, 0
	s_waitcnt lgkmcnt(0)
	s_and_b32 s2, s0, 0xffff
	s_lshr_b32 s0, s0, 16
	s_and_b32 s1, s1, 0xffff
	s_mul_i32 s6, s6, s2
	s_mul_i32 s7, s7, s0
	;; [unrolled: 1-line block ×3, first 2 shown]
	v_add3_u32 v7, s6, s20, v0
	v_add3_u32 v5, s7, s22, v1
	v_add3_u32 v4, s8, s24, v2
	v_cmp_gt_i32_e32 vcc_lo, s21, v7
	v_cmp_gt_i32_e64 s0, s23, v5
	v_cmp_gt_i32_e64 s1, s25, v4
	s_and_b32 s0, vcc_lo, s0
	s_and_b32 s0, s0, s1
	s_and_saveexec_b32 s1, s0
	s_cbranch_execz .LBB1_2
; %bb.1:
	s_load_dwordx8 s[8:15], s[4:5], 0x20
	s_sub_i32 s0, s27, s26
	v_add_nc_u32_e32 v0, -2, v5
	s_add_i32 s2, s0, 1
	s_not_b32 s0, s0
	s_clause 0x1
	s_load_dwordx8 s[16:23], s[4:5], 0x40
	s_load_dwordx4 s[28:31], s[4:5], 0x98
	v_mul_lo_u32 v65, v0, s2
	v_mul_lo_u32 v34, v5, s2
	v_add_nc_u32_e32 v112, s2, v65
	v_lshl_add_u32 v106, s2, 1, v112
	s_waitcnt lgkmcnt(0)
	s_sub_i32 s1, s9, s8
	s_mul_i32 s0, s8, s0
	s_add_i32 s9, s1, 1
	s_sub_i32 s1, s11, s10
	s_mul_i32 s9, s9, s2
	s_add_i32 s6, s1, 1
	s_mul_i32 s3, s9, s10
	s_mul_i32 s6, s6, s9
	s_add_i32 s1, s26, s3
	v_mul_lo_u32 v60, v4, s9
	s_sub_i32 s3, s0, s1
	v_subrev_nc_u32_e32 v5, s8, v5
	s_sub_i32 s7, s3, s6
	v_add_nc_u32_e32 v15, s3, v7
	v_add_nc_u32_e32 v14, s7, v7
	;; [unrolled: 1-line block ×3, first 2 shown]
	s_lshl_b32 s8, s6, 1
	v_add3_u32 v53, v60, v34, s3
	v_add3_u32 v0, v60, v65, v15
	v_add_nc_u32_e32 v1, v65, v14
	v_add_nc_u32_e32 v3, v112, v14
	v_add3_u32 v2, v60, v112, v15
	v_add_nc_u32_e32 v25, v34, v15
	v_add_nc_u32_e32 v24, v34, v14
	buffer_store_dword v1, off, s[36:39], 0 offset:132 ; 4-byte Folded Spill
	v_add_nc_u32_e32 v6, v1, v60
	v_ashrrev_i32_e32 v1, 31, v0
	buffer_store_dword v3, off, s[36:39], 0 offset:128 ; 4-byte Folded Spill
	v_add_nc_u32_e32 v9, v3, v60
	v_ashrrev_i32_e32 v3, 31, v2
	buffer_store_dword v6, off, s[36:39], 0 offset:32 ; 4-byte Folded Spill
	v_lshlrev_b64 v[0:1], 3, v[0:1]
	v_add_nc_u32_e32 v8, s6, v6
	buffer_store_dword v9, off, s[36:39], 0 offset:36 ; 4-byte Folded Spill
	v_lshlrev_b64 v[12:13], 3, v[2:3]
	v_add_nc_u32_e32 v10, s6, v9
	v_ashrrev_i32_e32 v6, 31, v5
	v_add_co_u32 v16, vcc_lo, s18, v0
	v_add_co_ci_u32_e64 v17, null, s19, v1, vcc_lo
	v_add_co_u32 v12, s0, s18, v12
	v_add_co_ci_u32_e64 v13, null, s19, v13, s0
	global_load_dwordx2 v[28:29], v[16:17], off
	v_ashrrev_i32_e32 v9, 31, v8
	v_ashrrev_i32_e32 v11, 31, v10
	v_lshlrev_b64 v[5:6], 3, v[5:6]
	v_add_nc_u32_e32 v42, v24, v60
	s_waitcnt vmcnt(0)
	buffer_store_dword v28, off, s[36:39], 0 offset:48 ; 4-byte Folded Spill
	buffer_store_dword v29, off, s[36:39], 0 offset:52 ; 4-byte Folded Spill
	global_load_dwordx2 v[20:21], v[12:13], off
	v_lshlrev_b64 v[2:3], 3, v[8:9]
	v_lshlrev_b64 v[0:1], 3, v[10:11]
	s_waitcnt vmcnt(0)
	buffer_store_dword v20, off, s[36:39], 0 offset:40 ; 4-byte Folded Spill
	buffer_store_dword v21, off, s[36:39], 0 offset:44 ; 4-byte Folded Spill
	v_add_co_u32 v8, vcc_lo, s22, v2
	v_add_co_u32 v10, s0, s22, v0
	v_add_co_ci_u32_e64 v9, null, s23, v3, vcc_lo
	v_add_co_ci_u32_e64 v11, null, s23, v1, s0
	s_clause 0x1
	global_load_dwordx2 v[35:36], v[8:9], off
	global_load_dwordx2 v[18:19], v[10:11], off
	v_add_nc_u32_e32 v11, v106, v14
	v_add3_u32 v8, v60, v106, v15
	v_add_nc_u32_e32 v10, v25, v60
	v_add_co_u32 v26, vcc_lo, s30, v5
	v_add_nc_u32_e32 v16, v11, v60
	buffer_store_dword v11, off, s[36:39], 0 offset:260 ; 4-byte Folded Spill
	v_ashrrev_i32_e32 v9, 31, v8
	v_ashrrev_i32_e32 v11, 31, v10
	v_add_nc_u32_e32 v5, s6, v42
	buffer_store_dword v16, off, s[36:39], 0 offset:56 ; 4-byte Folded Spill
	v_add_nc_u32_e32 v16, s6, v16
	v_lshlrev_b64 v[12:13], 3, v[8:9]
	v_add_co_ci_u32_e64 v27, null, s31, v6, vcc_lo
	v_lshlrev_b64 v[8:9], 3, v[10:11]
	v_ashrrev_i32_e32 v6, 31, v5
	v_ashrrev_i32_e32 v17, 31, v16
	v_add_co_u32 v10, vcc_lo, s18, v12
	v_add_co_ci_u32_e64 v11, null, s19, v13, vcc_lo
	v_lshlrev_b64 v[32:33], 3, v[5:6]
	v_add_co_u32 v12, vcc_lo, s18, v8
	v_add_co_ci_u32_e64 v13, null, s19, v9, vcc_lo
	v_add_nc_u32_e32 v14, v107, v14
	v_add_co_u32 v30, vcc_lo, s22, v32
	v_add_co_ci_u32_e64 v31, null, s23, v33, vcc_lo
	s_waitcnt vmcnt(1)
	buffer_store_dword v35, off, s[36:39], 0 offset:68 ; 4-byte Folded Spill
	buffer_store_dword v36, off, s[36:39], 0 offset:72 ; 4-byte Folded Spill
	s_waitcnt vmcnt(0)
	v_mov_b32_e32 v23, v19
	v_mov_b32_e32 v22, v18
	buffer_store_dword v22, off, s[36:39], 0 offset:60 ; 4-byte Folded Spill
	buffer_store_dword v23, off, s[36:39], 0 offset:64 ; 4-byte Folded Spill
	v_mul_f64 v[5:6], v[28:29], v[35:36]
	v_lshlrev_b64 v[28:29], 3, v[16:17]
	global_load_dwordx2 v[16:17], v[10:11], off
	s_waitcnt vmcnt(0)
	buffer_store_dword v16, off, s[36:39], 0 offset:100 ; 4-byte Folded Spill
	buffer_store_dword v17, off, s[36:39], 0 offset:104 ; 4-byte Folded Spill
	v_add_co_u32 v10, s0, s22, v28
	v_add_co_ci_u32_e64 v11, null, s23, v29, s0
	global_load_dwordx2 v[78:79], v[12:13], off
	v_mul_f64 v[43:44], v[35:36], v[5:6]
	v_mul_f64 v[18:19], v[20:21], v[22:23]
	global_load_dwordx2 v[10:11], v[10:11], off
	v_add_co_u32 v20, s1, s16, v2
	v_add_co_ci_u32_e64 v21, null, s17, v3, s1
	v_add_co_u32 v0, s1, s16, v0
	v_add_co_ci_u32_e64 v1, null, s17, v1, s1
	s_ashr_i32 s1, s7, 31
	s_waitcnt vmcnt(0)
	buffer_store_dword v10, off, s[36:39], 0 offset:92 ; 4-byte Folded Spill
	buffer_store_dword v11, off, s[36:39], 0 offset:96 ; 4-byte Folded Spill
	;; [unrolled: 1-line block ×4, first 2 shown]
	global_load_dwordx4 v[49:52], v[30:31], off
	global_load_dwordx4 v[124:127], v[26:27], off
	v_mul_f64 v[18:19], v[22:23], v[18:19]
	v_add_nc_u32_e32 v22, 1, v7
	v_mul_f64 v[5:6], v[16:17], v[10:11]
	s_waitcnt vmcnt(1)
	v_mul_f64 v[2:3], v[78:79], v[49:50]
	v_mul_f64 v[5:6], v[10:11], v[5:6]
	v_mov_b32_e32 v10, v18
	v_mov_b32_e32 v11, v19
	v_mul_f64 v[2:3], v[49:50], v[2:3]
	v_mov_b32_e32 v55, v6
	v_mov_b32_e32 v54, v5
	buffer_store_dword v54, off, s[36:39], 0 offset:352 ; 4-byte Folded Spill
	buffer_store_dword v55, off, s[36:39], 0 offset:356 ; 4-byte Folded Spill
	global_load_dwordx4 v[35:38], v[26:27], off offset:-16
	s_waitcnt vmcnt(1)
	v_mul_f64 v[12:13], v[124:125], v[2:3]
	v_mul_f64 v[40:41], v[126:127], v[5:6]
	s_waitcnt vmcnt(0)
	buffer_store_dword v35, off, s[36:39], 0 offset:76 ; 4-byte Folded Spill
	buffer_store_dword v36, off, s[36:39], 0 offset:80 ; 4-byte Folded Spill
	;; [unrolled: 1-line block ×6, first 2 shown]
	buffer_store_dword v32, off, s[36:39], 0 ; 4-byte Folded Spill
	buffer_store_dword v33, off, s[36:39], 0 offset:4 ; 4-byte Folded Spill
	v_fma_f64 v[2:3], v[35:36], v[43:44], v[40:41]
	v_fma_f64 v[5:6], v[37:38], v[10:11], v[12:13]
	v_mul_f64 v[38:39], v[37:38], v[10:11]
	v_fma_f64 v[10:11], v[35:36], v[43:44], v[12:13]
	v_ashrrev_i32_e32 v36, 31, v7
	v_fma_f64 v[5:6], 0x40080000, v[5:6], v[2:3]
	v_add_co_u32 v2, vcc_lo, s16, v32
	v_add_co_ci_u32_e64 v3, null, s17, v33, vcc_lo
	s_clause 0x1
	global_load_dwordx2 v[0:1], v[0:1], off
	global_load_dwordx4 v[16:19], v[2:3], off
	v_fma_f64 v[10:11], 0xbfe80000, v[10:11], v[38:39]
	buffer_store_dword v22, off, s[36:39], 0 offset:376 ; 4-byte Folded Spill
	v_add_nc_u32_e32 v22, v53, v22
	v_ashrrev_i32_e32 v23, 31, v22
	v_lshlrev_b64 v[22:23], 3, v[22:23]
	s_waitcnt vmcnt(0)
	v_add_f64 v[0:1], v[0:1], -v[16:17]
	v_add_f64 v[18:19], v[18:19], -v[16:17]
	v_mul_f64 v[0:1], v[5:6], v[0:1]
	global_load_dwordx2 v[5:6], v[20:21], off
	s_waitcnt vmcnt(0)
	v_add_f64 v[5:6], v[5:6], -v[16:17]
	v_fma_f64 v[43:44], v[10:11], v[5:6], v[0:1]
	v_subrev_nc_u32_e32 v0, s26, v7
	v_add_nc_u32_e32 v10, -1, v7
	v_ashrrev_i32_e32 v1, 31, v0
	buffer_store_dword v10, off, s[36:39], 0 offset:360 ; 4-byte Folded Spill
	v_add_nc_u32_e32 v10, v53, v10
	v_lshlrev_b64 v[0:1], 3, v[0:1]
	v_ashrrev_i32_e32 v11, 31, v10
	v_add_co_u32 v45, vcc_lo, s28, v0
	v_add_nc_u32_e32 v0, -2, v7
	v_add_co_ci_u32_e64 v46, null, s29, v1, vcc_lo
	v_lshlrev_b64 v[10:11], 3, v[10:11]
	buffer_store_dword v0, off, s[36:39], 0 offset:368 ; 4-byte Folded Spill
	v_add_nc_u32_e32 v0, v53, v0
	v_ashrrev_i32_e32 v1, 31, v0
	v_lshlrev_b64 v[0:1], 3, v[0:1]
	v_add_co_u32 v5, vcc_lo, s18, v0
	v_add_co_ci_u32_e64 v6, null, s19, v1, vcc_lo
	v_add_co_u32 v0, vcc_lo, s20, v0
	v_add_co_ci_u32_e64 v1, null, s21, v1, vcc_lo
	global_load_dwordx2 v[5:6], v[5:6], off
	global_load_dwordx2 v[47:48], v[0:1], off
	v_add_co_u32 v20, vcc_lo, s18, v10
	v_add_co_ci_u32_e64 v21, null, s19, v11, vcc_lo
	v_add_co_u32 v10, vcc_lo, s20, v10
	v_add_co_ci_u32_e64 v11, null, s21, v11, vcc_lo
	;; [unrolled: 2-line block ×5, first 2 shown]
	v_add_nc_u32_e32 v7, 2, v7
	v_add_co_u32 v35, s0, v35, v34
	v_ashrrev_i32_e32 v34, 31, v34
	s_waitcnt vmcnt(0)
	buffer_store_dword v47, off, s[36:39], 0 offset:556 ; 4-byte Folded Spill
	buffer_store_dword v48, off, s[36:39], 0 offset:560 ; 4-byte Folded Spill
	v_add_co_ci_u32_e64 v34, null, v36, v34, s0
	v_ashrrev_i32_e32 v36, 31, v60
	v_add_co_u32 v35, vcc_lo, v35, v60
	s_ashr_i32 s0, s6, 31
	v_add_co_ci_u32_e64 v36, null, v34, v36, vcc_lo
	v_add_co_u32 v34, vcc_lo, v35, s6
	v_add_co_ci_u32_e64 v35, null, s0, v36, vcc_lo
	global_load_dwordx2 v[0:1], v[20:21], off
	global_load_dwordx2 v[36:37], v[10:11], off
	s_load_dwordx4 s[0:3], s[4:5], 0x60
	s_mov_b32 s5, 0x3fe55555
	v_lshlrev_b64 v[34:35], 3, v[34:35]
	s_waitcnt vmcnt(0)
	buffer_store_dword v36, off, s[36:39], 0 offset:548 ; 4-byte Folded Spill
	buffer_store_dword v37, off, s[36:39], 0 offset:552 ; 4-byte Folded Spill
	global_load_dwordx2 v[10:11], v[32:33], off
	global_load_dwordx2 v[22:23], v[22:23], off
	v_add_co_u32 v34, vcc_lo, s22, v34
	v_add_co_ci_u32_e64 v35, null, s23, v35, vcc_lo
	v_add_co_u32 v20, vcc_lo, s20, v8
	v_add_co_ci_u32_e64 v21, null, s21, v9, vcc_lo
	v_fma_f64 v[32:33], v[5:6], 2.0, v[47:48]
	s_waitcnt vmcnt(0)
	buffer_store_dword v22, off, s[36:39], 0 offset:492 ; 4-byte Folded Spill
	buffer_store_dword v23, off, s[36:39], 0 offset:496 ; 4-byte Folded Spill
	global_load_dwordx2 v[61:62], v[20:21], off
	v_fma_f64 v[47:48], v[0:1], 2.0, v[36:37]
	s_waitcnt vmcnt(0)
	buffer_store_dword v61, off, s[36:39], 0 offset:436 ; 4-byte Folded Spill
	buffer_store_dword v62, off, s[36:39], 0 offset:440 ; 4-byte Folded Spill
	v_fma_f64 v[5:6], v[10:11], 2.0, v[22:23]
	buffer_store_dword v32, off, s[36:39], 0 offset:400 ; 4-byte Folded Spill
	buffer_store_dword v33, off, s[36:39], 0 offset:404 ; 4-byte Folded Spill
	;; [unrolled: 1-line block ×6, first 2 shown]
	global_load_dwordx4 v[20:23], v[34:35], off offset:-16
	s_waitcnt vmcnt(0)
	buffer_store_dword v20, off, s[36:39], 0 offset:564 ; 4-byte Folded Spill
	buffer_store_dword v21, off, s[36:39], 0 offset:568 ; 4-byte Folded Spill
	;; [unrolled: 1-line block ×4, first 2 shown]
	v_mul_f64 v[0:1], v[32:33], v[20:21]
	v_mul_f64 v[36:37], v[20:21], v[0:1]
	;; [unrolled: 1-line block ×4, first 2 shown]
	v_mov_b32_e32 v20, v49
	v_mov_b32_e32 v21, v50
	;; [unrolled: 1-line block ×4, first 2 shown]
	buffer_store_dword v20, off, s[36:39], 0 offset:500 ; 4-byte Folded Spill
	buffer_store_dword v21, off, s[36:39], 0 offset:504 ; 4-byte Folded Spill
	;; [unrolled: 1-line block ×4, first 2 shown]
	s_clause 0x1
	global_load_dwordx4 v[88:91], v[45:46], off
	global_load_dwordx4 v[32:35], v[45:46], off offset:-16
	s_waitcnt vmcnt(0)
	buffer_store_dword v32, off, s[36:39], 0 offset:384 ; 4-byte Folded Spill
	buffer_store_dword v33, off, s[36:39], 0 offset:388 ; 4-byte Folded Spill
	;; [unrolled: 1-line block ×4, first 2 shown]
	v_mul_f64 v[0:1], v[5:6], v[22:23]
	buffer_store_dword v14, off, s[36:39], 0 offset:240 ; 4-byte Folded Spill
	v_add_nc_u32_e32 v14, v14, v60
	buffer_store_dword v14, off, s[36:39], 0 offset:124 ; 4-byte Folded Spill
	v_add_nc_u32_e32 v14, s6, v14
	v_mul_f64 v[49:50], v[22:23], v[0:1]
	v_fma_f64 v[0:1], v[78:79], 2.0, v[61:62]
	v_mul_f64 v[5:6], v[0:1], v[20:21]
	v_mul_f64 v[5:6], v[20:21], v[5:6]
	;; [unrolled: 1-line block ×4, first 2 shown]
	v_fma_f64 v[20:21], v[32:33], v[36:37], v[5:6]
	v_fma_f64 v[22:23], v[34:35], v[47:48], v[10:11]
	v_mul_f64 v[47:48], v[34:35], v[47:48]
	v_fma_f64 v[36:37], v[32:33], v[36:37], v[10:11]
	v_fma_f64 v[51:52], 0x40080000, v[22:23], v[20:21]
	global_load_dwordx4 v[20:23], v[2:3], off offset:-16
	v_fma_f64 v[36:37], 0xbfe80000, v[36:37], v[47:48]
	s_waitcnt vmcnt(0)
	v_add_f64 v[22:23], v[22:23], -v[16:17]
	v_add_f64 v[20:21], v[20:21], -v[16:17]
	v_mul_f64 v[22:23], v[51:52], v[22:23]
	v_fma_f64 v[22:23], v[36:37], v[20:21], v[22:23]
	v_add3_u32 v20, v60, v107, v15
	v_ashrrev_i32_e32 v15, 31, v14
	v_ashrrev_i32_e32 v21, 31, v20
	v_lshlrev_b64 v[36:37], 3, v[14:15]
	v_lshlrev_b64 v[20:21], 3, v[20:21]
	v_add_co_u32 v20, vcc_lo, s18, v20
	v_add_co_ci_u32_e64 v21, null, s19, v21, vcc_lo
	v_add_co_u32 v28, vcc_lo, s16, v28
	v_add_co_ci_u32_e64 v29, null, s17, v29, vcc_lo
	global_load_dwordx2 v[34:35], v[20:21], off
	v_add_co_u32 v14, vcc_lo, s22, v36
	v_add_co_ci_u32_e64 v15, null, s23, v37, vcc_lo
	s_waitcnt vmcnt(0)
	buffer_store_dword v34, off, s[36:39], 0 offset:116 ; 4-byte Folded Spill
	buffer_store_dword v35, off, s[36:39], 0 offset:120 ; 4-byte Folded Spill
	global_load_dwordx2 v[20:21], v[14:15], off
	s_waitcnt vmcnt(0)
	buffer_store_dword v20, off, s[36:39], 0 offset:108 ; 4-byte Folded Spill
	buffer_store_dword v21, off, s[36:39], 0 offset:112 ; 4-byte Folded Spill
	global_load_dwordx2 v[26:27], v[26:27], off offset:16
	v_mul_f64 v[14:15], v[34:35], v[20:21]
	v_mul_f64 v[20:21], v[20:21], v[14:15]
	v_mov_b32_e32 v35, v21
	s_waitcnt vmcnt(0)
	v_fma_f64 v[14:15], v[26:27], v[20:21], v[38:39]
	v_mov_b32_e32 v34, v20
	v_fma_f64 v[20:21], v[126:127], v[54:55], v[12:13]
	v_mov_b32_e32 v39, v27
	v_mov_b32_e32 v38, v26
	buffer_store_dword v34, off, s[36:39], 0 offset:424 ; 4-byte Folded Spill
	buffer_store_dword v35, off, s[36:39], 0 offset:428 ; 4-byte Folded Spill
	buffer_store_dword v38, off, s[36:39], 0 offset:136 ; 4-byte Folded Spill
	buffer_store_dword v39, off, s[36:39], 0 offset:140 ; 4-byte Folded Spill
	buffer_store_dword v7, off, s[36:39], 0 offset:416 ; 4-byte Folded Spill
	v_fma_f64 v[14:15], 0x40080000, v[20:21], v[14:15]
	global_load_dwordx2 v[20:21], v[28:29], off
	v_fma_f64 v[12:13], v[38:39], v[34:35], v[12:13]
	s_waitcnt vmcnt(0)
	v_add_f64 v[20:21], v[20:21], -v[16:17]
	v_fma_f64 v[12:13], 0xbfe80000, v[12:13], v[40:41]
	v_fma_f64 v[14:15], v[14:15], v[20:21], v[43:44]
	v_add_nc_u32_e32 v20, v53, v7
	v_ashrrev_i32_e32 v21, 31, v20
	v_lshlrev_b64 v[20:21], 3, v[20:21]
	v_add_co_u32 v26, vcc_lo, s18, v20
	v_add_co_ci_u32_e64 v27, null, s19, v21, vcc_lo
	v_add_co_u32 v20, vcc_lo, s20, v20
	v_add_co_ci_u32_e64 v21, null, s21, v21, vcc_lo
	global_load_dwordx2 v[26:27], v[26:27], off
	global_load_dwordx2 v[20:21], v[20:21], off
	s_waitcnt lgkmcnt(0)
	v_add_co_u32 v7, vcc_lo, s0, v8
	v_add_co_ci_u32_e64 v8, null, s1, v9, vcc_lo
	s_mov_b32 s1, 0x3fc55555
	s_mov_b32 s0, 0x55555555
	s_waitcnt vmcnt(0)
	buffer_store_dword v20, off, s[36:39], 0 offset:516 ; 4-byte Folded Spill
	buffer_store_dword v21, off, s[36:39], 0 offset:520 ; 4-byte Folded Spill
	global_load_dwordx2 v[30:31], v[30:31], off offset:16
	s_mov_b32 s4, s0
	s_waitcnt vmcnt(0)
	buffer_store_dword v30, off, s[36:39], 0 offset:524 ; 4-byte Folded Spill
	buffer_store_dword v31, off, s[36:39], 0 offset:528 ; 4-byte Folded Spill
	v_fma_f64 v[26:27], v[26:27], 2.0, v[20:21]
	global_load_dwordx2 v[28:29], v[45:46], off offset:16
	buffer_store_dword v26, off, s[36:39], 0 offset:484 ; 4-byte Folded Spill
	buffer_store_dword v27, off, s[36:39], 0 offset:488 ; 4-byte Folded Spill
	s_waitcnt vmcnt(0)
	v_mov_b32_e32 v33, v29
	v_mov_b32_e32 v32, v28
	buffer_store_dword v32, off, s[36:39], 0 offset:468 ; 4-byte Folded Spill
	buffer_store_dword v33, off, s[36:39], 0 offset:472 ; 4-byte Folded Spill
	v_mul_f64 v[20:21], v[26:27], v[30:31]
	v_mul_f64 v[20:21], v[30:31], v[20:21]
	;; [unrolled: 1-line block ×3, first 2 shown]
	v_fma_f64 v[26:27], v[28:29], v[20:21], v[47:48]
	v_fma_f64 v[28:29], v[90:91], v[49:50], v[10:11]
	;; [unrolled: 1-line block ×3, first 2 shown]
	global_load_dwordx2 v[28:29], v[7:8], off
	s_waitcnt vmcnt(0)
	buffer_store_dword v28, off, s[36:39], 0 offset:16 ; 4-byte Folded Spill
	buffer_store_dword v29, off, s[36:39], 0 offset:20 ; 4-byte Folded Spill
	;; [unrolled: 1-line block ×4, first 2 shown]
	v_fma_f64 v[22:23], v[26:27], v[18:19], v[22:23]
	v_fma_f64 v[10:11], v[32:33], v[20:21], v[10:11]
	;; [unrolled: 1-line block ×3, first 2 shown]
	v_div_scale_f64 v[7:8], null, v[28:29], v[28:29], v[30:31]
	v_rcp_f64_e32 v[18:19], v[7:8]
	v_fma_f64 v[26:27], -v[7:8], v[18:19], 1.0
	v_fma_f64 v[18:19], v[18:19], v[26:27], v[18:19]
	v_fma_f64 v[26:27], -v[7:8], v[18:19], 1.0
	v_fma_f64 v[18:19], v[18:19], v[26:27], v[18:19]
	v_div_scale_f64 v[26:27], vcc_lo, v[30:31], v[28:29], v[30:31]
	v_mul_f64 v[28:29], v[26:27], v[18:19]
	v_fma_f64 v[7:8], -v[7:8], v[28:29], v[26:27]
	v_div_fmas_f64 v[7:8], v[7:8], v[18:19], v[28:29]
	buffer_store_dword v7, off, s[36:39], 0 offset:24 ; 4-byte Folded Spill
	buffer_store_dword v8, off, s[36:39], 0 offset:28 ; 4-byte Folded Spill
	v_div_scale_f64 v[7:8], null, v[124:125], v[124:125], 1.0
	v_rcp_f64_e32 v[18:19], v[7:8]
	v_fma_f64 v[26:27], -v[7:8], v[18:19], 1.0
	v_fma_f64 v[18:19], v[18:19], v[26:27], v[18:19]
	v_fma_f64 v[26:27], -v[7:8], v[18:19], 1.0
	v_fma_f64 v[18:19], v[18:19], v[26:27], v[18:19]
	v_div_scale_f64 v[26:27], vcc_lo, 1.0, v[124:125], 1.0
	v_mul_f64 v[28:29], v[26:27], v[18:19]
	v_fma_f64 v[7:8], -v[7:8], v[28:29], v[26:27]
	v_div_fmas_f64 v[7:8], v[7:8], v[18:19], v[28:29]
	v_div_scale_f64 v[18:19], null, v[88:89], v[88:89], 1.0
	buffer_store_dword v7, off, s[36:39], 0 offset:244 ; 4-byte Folded Spill
	buffer_store_dword v8, off, s[36:39], 0 offset:248 ; 4-byte Folded Spill
	v_rcp_f64_e32 v[26:27], v[18:19]
	v_fma_f64 v[28:29], -v[18:19], v[26:27], 1.0
	v_fma_f64 v[26:27], v[26:27], v[28:29], v[26:27]
	v_fma_f64 v[28:29], -v[18:19], v[26:27], 1.0
	v_fma_f64 v[26:27], v[26:27], v[28:29], v[26:27]
	v_div_scale_f64 v[28:29], vcc_lo, 1.0, v[88:89], 1.0
	v_mul_f64 v[30:31], v[28:29], v[26:27]
	v_fma_f64 v[18:19], -v[18:19], v[30:31], v[28:29]
	v_div_fmas_f64 v[7:8], v[18:19], v[26:27], v[30:31]
	v_add_co_u32 v18, vcc_lo, s16, v36
	v_add_co_ci_u32_e64 v19, null, s17, v37, vcc_lo
	buffer_store_dword v7, off, s[36:39], 0 offset:252 ; 4-byte Folded Spill
	buffer_store_dword v8, off, s[36:39], 0 offset:256 ; 4-byte Folded Spill
	global_load_dwordx2 v[18:19], v[18:19], off
	s_waitcnt vmcnt(0)
	v_add_f64 v[18:19], v[18:19], -v[16:17]
	v_fma_f64 v[7:8], v[12:13], v[18:19], v[14:15]
	buffer_store_dword v7, off, s[36:39], 0 offset:444 ; 4-byte Folded Spill
	buffer_store_dword v8, off, s[36:39], 0 offset:448 ; 4-byte Folded Spill
	global_load_dwordx2 v[2:3], v[2:3], off offset:16
	s_waitcnt vmcnt(0)
	v_add_f64 v[2:3], v[2:3], -v[16:17]
	v_fma_f64 v[117:118], v[5:6], v[2:3], v[22:23]
	v_add_nc_u32_e32 v2, -2, v4
	v_mul_lo_u32 v121, v2, s9
	v_add_nc_u32_e32 v2, v121, v25
	v_ashrrev_i32_e32 v3, 31, v2
	v_lshlrev_b64 v[4:5], 3, v[2:3]
	v_add_co_u32 v2, vcc_lo, s18, v4
	v_add_co_ci_u32_e64 v3, null, s19, v5, vcc_lo
	v_add_co_u32 v10, vcc_lo, s20, v4
	v_add_co_ci_u32_e64 v11, null, s21, v5, vcc_lo
	v_add_nc_u32_e32 v5, s9, v121
	v_mov_b32_e32 v8, v5
	v_add_nc_u32_e32 v4, v5, v25
	v_mov_b32_e32 v9, v8
	v_ashrrev_i32_e32 v5, 31, v4
	v_lshl_add_u32 v8, s9, 1, v9
	v_lshlrev_b64 v[4:5], 3, v[4:5]
	buffer_store_dword v9, off, s[36:39], 0 offset:264 ; 4-byte Folded Spill
	v_add_nc_u32_e32 v9, v9, v24
	v_add_nc_u32_e32 v12, v8, v25
	v_mov_b32_e32 v31, v8
	v_add_nc_u32_e32 v8, v121, v24
	v_add_co_u32 v6, vcc_lo, s18, v4
	v_ashrrev_i32_e32 v13, 31, v12
	v_add_co_ci_u32_e64 v7, null, s19, v5, vcc_lo
	v_add_nc_u32_e32 v18, s8, v8
	v_add_co_u32 v4, vcc_lo, s20, v4
	v_lshlrev_b64 v[12:13], 3, v[12:13]
	v_add_co_ci_u32_e64 v5, null, s21, v5, vcc_lo
	v_add_nc_u32_e32 v19, s6, v18
	v_add_nc_u32_e32 v72, v31, v24
	v_mov_b32_e32 v49, v31
	v_add_co_u32 v14, vcc_lo, s18, v12
	v_add_nc_u32_e32 v20, s6, v19
	v_add_co_ci_u32_e64 v15, null, s19, v13, vcc_lo
	v_add_co_u32 v12, vcc_lo, s20, v12
	v_ashrrev_i32_e32 v21, 31, v20
	v_add_co_ci_u32_e64 v13, null, s21, v13, vcc_lo
	v_lshlrev_b64 v[20:21], 3, v[20:21]
	v_add_co_u32 v22, vcc_lo, s22, v20
	v_add_co_ci_u32_e64 v23, null, s23, v21, vcc_lo
	v_add_nc_u32_e32 v21, s8, v9
	v_ashrrev_i32_e32 v20, 31, v19
	v_add_nc_u32_e32 v26, s6, v21
	v_lshlrev_b64 v[52:53], 3, v[19:20]
	v_add_nc_u32_e32 v27, s6, v26
	v_ashrrev_i32_e32 v28, 31, v27
	v_lshlrev_b64 v[27:28], 3, v[27:28]
	v_add_co_u32 v29, vcc_lo, s22, v27
	v_add_co_ci_u32_e64 v30, null, s23, v28, vcc_lo
	v_add_nc_u32_e32 v28, s8, v42
	v_ashrrev_i32_e32 v27, 31, v26
	v_add_nc_u32_e32 v36, s6, v28
	v_lshlrev_b64 v[50:51], 3, v[26:27]
	v_add_nc_u32_e32 v37, s6, v36
	v_ashrrev_i32_e32 v38, 31, v37
	v_lshlrev_b64 v[37:38], 3, v[37:38]
	v_add_co_u32 v32, vcc_lo, s22, v37
	v_add_nc_u32_e32 v37, s8, v72
	v_add_co_ci_u32_e64 v33, null, s23, v38, vcc_lo
	v_add_nc_u32_e32 v38, s6, v37
	v_mov_b32_e32 v67, v33
	v_mov_b32_e32 v66, v32
	buffer_store_dword v66, off, s[36:39], 0 offset:532 ; 4-byte Folded Spill
	buffer_store_dword v67, off, s[36:39], 0 offset:536 ; 4-byte Folded Spill
	v_add_nc_u32_e32 v39, s6, v38
	buffer_store_dword v49, off, s[36:39], 0 offset:340 ; 4-byte Folded Spill
	v_ashrrev_i32_e32 v40, 31, v39
	v_lshlrev_b64 v[39:40], 3, v[39:40]
	v_add_co_u32 v41, vcc_lo, s22, v39
	v_add_co_ci_u32_e64 v42, null, s23, v40, vcc_lo
	v_add_co_u32 v19, vcc_lo, s22, v52
	v_add_co_ci_u32_e64 v20, null, s23, v53, vcc_lo
	global_load_dwordx2 v[47:48], v[19:20], off
	global_load_dwordx2 v[45:46], v[2:3], off
	;; [unrolled: 1-line block ×3, first 2 shown]
	v_ashrrev_i32_e32 v19, 31, v18
	v_lshlrev_b64 v[2:3], 3, v[18:19]
	v_add_co_u32 v10, vcc_lo, s22, v2
	v_add_co_ci_u32_e64 v11, null, s23, v3, vcc_lo
	s_clause 0x1
	global_load_dwordx2 v[43:44], v[10:11], off
	global_load_dwordx2 v[100:101], v[22:23], off
	v_add_co_u32 v22, vcc_lo, s22, v50
	v_add_co_ci_u32_e64 v23, null, s23, v51, vcc_lo
	s_waitcnt vmcnt(4)
	v_mul_f64 v[10:11], v[124:125], v[47:48]
	s_waitcnt vmcnt(3)
	v_mov_b32_e32 v123, v46
	s_waitcnt vmcnt(2)
	v_fma_f64 v[18:19], v[45:46], 2.0, v[39:40]
	v_mov_b32_e32 v77, v40
	v_mov_b32_e32 v76, v39
	;; [unrolled: 1-line block ×3, first 2 shown]
	buffer_store_dword v76, off, s[36:39], 0 offset:176 ; 4-byte Folded Spill
	buffer_store_dword v77, off, s[36:39], 0 offset:180 ; 4-byte Folded Spill
	v_ashrrev_i32_e32 v39, 31, v38
	v_lshlrev_b64 v[34:35], 3, v[38:39]
	v_ashrrev_i32_e32 v38, 31, v37
	s_waitcnt vmcnt(1)
	v_mov_b32_e32 v81, v44
	v_mov_b32_e32 v80, v43
	v_mul_f64 v[10:11], v[47:48], v[10:11]
	v_mul_f64 v[18:19], v[18:19], v[43:44]
	buffer_store_dword v18, off, s[36:39], 0 offset:476 ; 4-byte Folded Spill
	buffer_store_dword v19, off, s[36:39], 0 offset:480 ; 4-byte Folded Spill
	;; [unrolled: 1-line block ×6, first 2 shown]
	global_load_dwordx2 v[32:33], v[22:23], off
	global_load_dwordx2 v[104:105], v[6:7], off
	;; [unrolled: 1-line block ×3, first 2 shown]
	v_ashrrev_i32_e32 v22, 31, v21
	v_mul_f64 v[10:11], v[124:125], v[10:11]
	v_lshlrev_b64 v[6:7], 3, v[21:22]
	v_add_co_u32 v4, vcc_lo, s22, v6
	v_add_co_ci_u32_e64 v5, null, s23, v7, vcc_lo
	s_clause 0x1
	global_load_dwordx2 v[22:23], v[4:5], off
	global_load_dwordx2 v[108:109], v[29:30], off
	s_waitcnt vmcnt(5)
	v_fma_f64 v[10:11], v[100:101], v[100:101], v[10:11]
	v_mul_f64 v[10:11], v[45:46], v[10:11]
	v_mul_f64 v[18:19], v[88:89], v[18:19]
	s_waitcnt vmcnt(4)
	v_mul_f64 v[4:5], v[124:125], v[32:33]
	s_waitcnt vmcnt(2)
	v_fma_f64 v[20:21], v[104:105], 2.0, v[26:27]
	v_mov_b32_e32 v59, v27
	v_mov_b32_e32 v58, v26
	buffer_store_dword v58, off, s[36:39], 0 offset:144 ; 4-byte Folded Spill
	buffer_store_dword v59, off, s[36:39], 0 offset:148 ; 4-byte Folded Spill
	s_waitcnt vmcnt(1)
	v_mov_b32_e32 v75, v23
	v_mov_b32_e32 v74, v22
	v_mul_f64 v[4:5], v[32:33], v[4:5]
	v_mul_f64 v[18:19], v[43:44], v[18:19]
	;; [unrolled: 1-line block ×3, first 2 shown]
	buffer_store_dword v20, off, s[36:39], 0 offset:708 ; 4-byte Folded Spill
	buffer_store_dword v21, off, s[36:39], 0 offset:712 ; 4-byte Folded Spill
	v_mul_f64 v[4:5], v[124:125], v[4:5]
	buffer_store_dword v74, off, s[36:39], 0 offset:152 ; 4-byte Folded Spill
	buffer_store_dword v75, off, s[36:39], 0 offset:156 ; 4-byte Folded Spill
	v_fma_f64 v[10:11], v[88:89], v[18:19], v[10:11]
	s_waitcnt vmcnt(0)
	v_fma_f64 v[4:5], v[108:109], v[108:109], v[4:5]
	v_mul_f64 v[4:5], v[104:105], v[4:5]
	buffer_store_dword v104, off, s[36:39], 0 offset:284 ; 4-byte Folded Spill
	buffer_store_dword v105, off, s[36:39], 0 offset:288 ; 4-byte Folded Spill
	v_mul_f64 v[20:21], v[88:89], v[20:21]
	v_mul_f64 v[20:21], v[22:23], v[20:21]
	v_add_co_u32 v22, vcc_lo, s22, v34
	v_add_co_ci_u32_e64 v23, null, s23, v35, vcc_lo
	global_load_dwordx2 v[113:114], v[22:23], off
	global_load_dwordx2 v[61:62], v[14:15], off
	;; [unrolled: 1-line block ×3, first 2 shown]
	v_lshlrev_b64 v[12:13], 3, v[37:38]
	v_ashrrev_i32_e32 v37, 31, v36
	v_add_co_u32 v14, vcc_lo, s22, v12
	v_add_co_ci_u32_e64 v15, null, s23, v13, vcc_lo
	s_clause 0x1
	global_load_dwordx2 v[29:30], v[14:15], off
	global_load_dwordx2 v[63:64], v[41:42], off
	v_fma_f64 v[4:5], v[88:89], v[20:21], v[4:5]
	s_waitcnt vmcnt(4)
	v_mul_f64 v[14:15], v[124:125], v[113:114]
	s_waitcnt vmcnt(2)
	v_fma_f64 v[22:23], v[61:62], 2.0, v[26:27]
	v_mov_b32_e32 v83, v27
	v_mov_b32_e32 v82, v26
	buffer_store_dword v82, off, s[36:39], 0 offset:160 ; 4-byte Folded Spill
	buffer_store_dword v83, off, s[36:39], 0 offset:164 ; 4-byte Folded Spill
	v_lshlrev_b64 v[26:27], 3, v[36:37]
	s_waitcnt vmcnt(1)
	v_mov_b32_e32 v103, v30
	v_mov_b32_e32 v102, v29
	v_mul_f64 v[14:15], v[113:114], v[14:15]
	v_mul_f64 v[20:21], v[22:23], v[29:30]
	buffer_store_dword v20, off, s[36:39], 0 offset:716 ; 4-byte Folded Spill
	buffer_store_dword v21, off, s[36:39], 0 offset:720 ; 4-byte Folded Spill
	v_mul_f64 v[14:15], v[124:125], v[14:15]
	buffer_store_dword v102, off, s[36:39], 0 offset:168 ; 4-byte Folded Spill
	buffer_store_dword v103, off, s[36:39], 0 offset:172 ; 4-byte Folded Spill
	s_waitcnt vmcnt(0)
	v_fma_f64 v[14:15], v[63:64], v[63:64], v[14:15]
	v_mul_f64 v[14:15], v[61:62], v[14:15]
	buffer_store_dword v61, off, s[36:39], 0 offset:276 ; 4-byte Folded Spill
	buffer_store_dword v62, off, s[36:39], 0 offset:280 ; 4-byte Folded Spill
	v_mul_f64 v[22:23], v[88:89], v[20:21]
	v_mul_f64 v[22:23], v[29:30], v[22:23]
	v_ashrrev_i32_e32 v29, 31, v28
	v_fma_f64 v[14:15], v[88:89], v[22:23], v[14:15]
	v_lshlrev_b64 v[22:23], 3, v[28:29]
	v_add_co_u32 v96, vcc_lo, s22, v22
	v_add_co_ci_u32_e64 v97, null, s23, v23, vcc_lo
	v_add_co_u32 v18, vcc_lo, s22, v26
	v_add_co_ci_u32_e64 v19, null, s23, v27, vcc_lo
	buffer_store_dword v18, off, s[36:39], 0 offset:844 ; 4-byte Folded Spill
	buffer_store_dword v19, off, s[36:39], 0 offset:848 ; 4-byte Folded Spill
	s_clause 0x1
	global_load_dwordx4 v[84:87], v[96:97], off
	global_load_dwordx4 v[42:45], v[18:19], off
	s_waitcnt vmcnt(1)
	v_mul_f64 v[0:1], v[0:1], v[84:85]
	v_mov_b32_e32 v18, v84
	v_mov_b32_e32 v19, v85
	;; [unrolled: 1-line block ×4, first 2 shown]
	v_mul_f64 v[0:1], v[88:89], v[0:1]
	v_mul_f64 v[0:1], v[84:85], v[0:1]
	s_waitcnt vmcnt(0)
	v_mul_f64 v[28:29], v[124:125], v[42:43]
	v_mul_f64 v[28:29], v[42:43], v[28:29]
	buffer_store_dword v42, off, s[36:39], 0 offset:780 ; 4-byte Folded Spill
	buffer_store_dword v43, off, s[36:39], 0 offset:784 ; 4-byte Folded Spill
	;; [unrolled: 1-line block ×4, first 2 shown]
	global_load_dwordx4 v[54:57], v[66:67], off
	v_mul_f64 v[28:29], v[124:125], v[28:29]
	s_waitcnt vmcnt(0)
	v_fma_f64 v[28:29], v[54:55], v[54:55], v[28:29]
	buffer_store_dword v54, off, s[36:39], 0 offset:580 ; 4-byte Folded Spill
	buffer_store_dword v55, off, s[36:39], 0 offset:584 ; 4-byte Folded Spill
	buffer_store_dword v56, off, s[36:39], 0 offset:588 ; 4-byte Folded Spill
	buffer_store_dword v57, off, s[36:39], 0 offset:592 ; 4-byte Folded Spill
	buffer_store_dword v18, off, s[36:39], 0 offset:828 ; 4-byte Folded Spill
	buffer_store_dword v19, off, s[36:39], 0 offset:832 ; 4-byte Folded Spill
	buffer_store_dword v20, off, s[36:39], 0 offset:836 ; 4-byte Folded Spill
	buffer_store_dword v21, off, s[36:39], 0 offset:840 ; 4-byte Folded Spill
	v_mul_f64 v[28:29], v[78:79], v[28:29]
	v_fma_f64 v[0:1], v[88:89], v[0:1], v[28:29]
	v_add_f64 v[28:29], v[10:11], v[14:15]
	v_add_f64 v[30:31], v[4:5], v[0:1]
	;; [unrolled: 1-line block ×3, first 2 shown]
	v_fma_f64 v[28:29], 0x40080000, v[30:31], v[28:29]
	v_add_nc_u32_e32 v30, s6, v9
	v_fma_f64 v[10:11], 0xbfe80000, v[10:11], v[4:5]
	v_ashrrev_i32_e32 v31, 31, v30
	v_lshlrev_b64 v[119:120], 3, v[30:31]
	v_add_co_u32 v70, vcc_lo, s16, v119
	v_add_co_ci_u32_e64 v71, null, s17, v120, vcc_lo
	global_load_dwordx4 v[36:39], v[70:71], off
	s_waitcnt vmcnt(0)
	buffer_store_dword v36, off, s[36:39], 0 offset:724 ; 4-byte Folded Spill
	buffer_store_dword v37, off, s[36:39], 0 offset:728 ; 4-byte Folded Spill
	;; [unrolled: 1-line block ×4, first 2 shown]
	v_add_f64 v[30:31], v[36:37], -v[16:17]
	v_mul_f64 v[28:29], v[28:29], v[30:31]
	v_add_nc_u32_e32 v30, s6, v8
	v_add_nc_u32_e32 v8, s9, v49
	v_ashrrev_i32_e32 v31, 31, v30
	v_add_nc_u32_e32 v41, v8, v24
	v_lshlrev_b64 v[115:116], 3, v[30:31]
	v_add_nc_u32_e32 v24, s8, v41
	v_add_co_u32 v110, vcc_lo, s16, v115
	v_add_co_ci_u32_e64 v111, null, s17, v116, vcc_lo
	global_load_dwordx4 v[36:39], v[110:111], off
	s_waitcnt vmcnt(0)
	buffer_store_dword v36, off, s[36:39], 0 offset:740 ; 4-byte Folded Spill
	buffer_store_dword v37, off, s[36:39], 0 offset:744 ; 4-byte Folded Spill
	;; [unrolled: 1-line block ×5, first 2 shown]
	v_add_f64 v[30:31], v[36:37], -v[16:17]
	v_add_nc_u32_e32 v36, s6, v24
	v_add_nc_u32_e32 v37, s6, v36
	v_ashrrev_i32_e32 v38, 31, v37
	v_lshlrev_b64 v[37:38], 3, v[37:38]
	v_fma_f64 v[10:11], v[10:11], v[30:31], v[28:29]
	v_add_nc_u32_e32 v28, v8, v25
	v_ashrrev_i32_e32 v25, 31, v24
	v_ashrrev_i32_e32 v29, 31, v28
	v_lshlrev_b64 v[24:25], 3, v[24:25]
	v_lshlrev_b64 v[28:29], 3, v[28:29]
	v_add_co_u32 v30, vcc_lo, s18, v28
	v_add_co_ci_u32_e64 v31, null, s19, v29, vcc_lo
	v_add_co_u32 v28, vcc_lo, s20, v28
	v_add_co_ci_u32_e64 v29, null, s21, v29, vcc_lo
	v_add_co_u32 v39, vcc_lo, s22, v37
	v_ashrrev_i32_e32 v37, 31, v36
	v_add_co_ci_u32_e64 v40, null, s23, v38, vcc_lo
	v_lshlrev_b64 v[8:9], 3, v[36:37]
	v_add_co_u32 v36, vcc_lo, s22, v8
	v_add_co_ci_u32_e64 v37, null, s23, v9, vcc_lo
	global_load_dwordx2 v[86:87], v[36:37], off
	global_load_dwordx2 v[30:31], v[30:31], off
	global_load_dwordx2 v[36:37], v[28:29], off
	v_add_co_u32 v28, vcc_lo, s22, v24
	v_add_co_ci_u32_e64 v29, null, s23, v25, vcc_lo
	s_clause 0x1
	global_load_dwordx2 v[84:85], v[28:29], off
	global_load_dwordx2 v[56:57], v[39:40], off
	s_waitcnt vmcnt(4)
	v_mul_f64 v[28:29], v[124:125], v[86:87]
	s_waitcnt vmcnt(3)
	v_mov_b32_e32 v39, v31
	v_mov_b32_e32 v38, v30
	s_waitcnt vmcnt(2)
	v_mov_b32_e32 v95, v37
	v_mov_b32_e32 v94, v36
	buffer_store_dword v94, off, s[36:39], 0 offset:192 ; 4-byte Folded Spill
	buffer_store_dword v95, off, s[36:39], 0 offset:196 ; 4-byte Folded Spill
	v_fma_f64 v[30:31], v[38:39], 2.0, v[36:37]
	v_mul_f64 v[28:29], v[86:87], v[28:29]
	s_waitcnt vmcnt(1)
	v_mul_f64 v[30:31], v[30:31], v[84:85]
	buffer_store_dword v30, off, s[36:39], 0 offset:756 ; 4-byte Folded Spill
	buffer_store_dword v31, off, s[36:39], 0 offset:760 ; 4-byte Folded Spill
	v_mul_f64 v[28:29], v[124:125], v[28:29]
	s_waitcnt vmcnt(0)
	v_fma_f64 v[28:29], v[56:57], v[56:57], v[28:29]
	v_mul_f64 v[28:29], v[38:39], v[28:29]
	v_mul_f64 v[30:31], v[88:89], v[30:31]
	;; [unrolled: 1-line block ×3, first 2 shown]
	buffer_store_dword v84, off, s[36:39], 0 offset:200 ; 4-byte Folded Spill
	buffer_store_dword v85, off, s[36:39], 0 offset:204 ; 4-byte Folded Spill
	;; [unrolled: 1-line block ×4, first 2 shown]
	v_fma_f64 v[28:29], v[88:89], v[30:31], v[28:29]
	v_add_f64 v[30:31], v[0:1], v[14:15]
	v_add_f64 v[4:5], v[4:5], v[28:29]
	;; [unrolled: 1-line block ×3, first 2 shown]
	v_fma_f64 v[4:5], 0x40080000, v[30:31], v[4:5]
	v_add_nc_u32_e32 v30, s6, v72
	v_fma_f64 v[0:1], 0xbfe80000, v[0:1], v[14:15]
	v_ashrrev_i32_e32 v31, 31, v30
	v_lshlrev_b64 v[72:73], 3, v[30:31]
	v_add_co_u32 v98, vcc_lo, s16, v72
	v_add_co_ci_u32_e64 v99, null, s17, v73, vcc_lo
	global_load_dwordx4 v[66:69], v[98:99], off
	s_waitcnt vmcnt(0)
	buffer_store_dword v66, off, s[36:39], 0 offset:764 ; 4-byte Folded Spill
	buffer_store_dword v67, off, s[36:39], 0 offset:768 ; 4-byte Folded Spill
	;; [unrolled: 1-line block ×4, first 2 shown]
	v_add_f64 v[30:31], v[66:67], -v[16:17]
	v_fma_f64 v[4:5], v[30:31], v[4:5], v[10:11]
	v_add_nc_u32_e32 v10, s6, v41
	v_ashrrev_i32_e32 v11, 31, v10
	v_lshlrev_b64 v[92:93], 3, v[10:11]
	v_add_co_u32 v36, vcc_lo, s16, v92
	v_add_co_ci_u32_e64 v37, null, s17, v93, vcc_lo
	global_load_dwordx4 v[28:31], v[36:37], off
	s_waitcnt vmcnt(0)
	buffer_store_dword v28, off, s[36:39], 0 offset:796 ; 4-byte Folded Spill
	buffer_store_dword v29, off, s[36:39], 0 offset:800 ; 4-byte Folded Spill
	;; [unrolled: 1-line block ×4, first 2 shown]
	v_add_f64 v[10:11], v[28:29], -v[16:17]
	v_fma_f64 v[0:1], v[10:11], v[0:1], v[4:5]
	s_clause 0x1
	buffer_load_dword v4, off, s[36:39], 0 offset:244
	buffer_load_dword v5, off, s[36:39], 0 offset:248
	v_mul_f64 v[0:1], v[0:1], s[0:1]
	s_waitcnt vmcnt(0)
	v_div_fixup_f64 v[16:17], v[4:5], v[124:125], 1.0
	buffer_store_dword v16, off, s[36:39], 0 offset:244 ; 4-byte Folded Spill
	buffer_store_dword v17, off, s[36:39], 0 offset:248 ; 4-byte Folded Spill
	s_clause 0x1
	buffer_load_dword v10, off, s[36:39], 0 offset:252
	buffer_load_dword v11, off, s[36:39], 0 offset:256
	v_mul_f64 v[4:5], v[117:118], s[0:1]
	v_fma_f64 v[4:5], v[16:17], v[4:5], 0
	s_waitcnt vmcnt(0)
	v_div_fixup_f64 v[14:15], v[10:11], v[88:89], 1.0
	buffer_store_dword v14, off, s[36:39], 0 offset:252 ; 4-byte Folded Spill
	buffer_store_dword v15, off, s[36:39], 0 offset:256 ; 4-byte Folded Spill
	s_clause 0x1
	buffer_load_dword v10, off, s[36:39], 0 offset:444
	buffer_load_dword v11, off, s[36:39], 0 offset:448
	s_waitcnt vmcnt(0)
	v_mul_f64 v[10:11], v[10:11], s[0:1]
	v_fma_f64 v[4:5], v[14:15], v[10:11], v[4:5]
	v_mul_f64 v[10:11], v[14:15], v[16:17]
	v_fma_f64 v[4:5], v[10:11], v[0:1], v[4:5]
	v_add_co_u32 v0, vcc_lo, s16, v22
	v_add_co_ci_u32_e64 v1, null, s17, v23, vcc_lo
	v_add_co_u32 v66, vcc_lo, s16, v6
	v_add_co_ci_u32_e64 v67, null, s17, v7, vcc_lo
	;; [unrolled: 2-line block ×3, first 2 shown]
	s_clause 0x1
	buffer_load_dword v2, off, s[36:39], 0 offset:436
	buffer_load_dword v3, off, s[36:39], 0 offset:440
	buffer_store_dword v113, off, s[36:39], 0 offset:316 ; 4-byte Folded Spill
	buffer_store_dword v114, off, s[36:39], 0 offset:320 ; 4-byte Folded Spill
	v_add_f64 v[6:7], v[122:123], v[76:77]
	buffer_store_dword v32, off, s[36:39], 0 offset:292 ; 4-byte Folded Spill
	buffer_store_dword v33, off, s[36:39], 0 offset:296 ; 4-byte Folded Spill
	;; [unrolled: 1-line block ×4, first 2 shown]
	v_mul_f64 v[10:11], v[6:7], v[80:81]
	v_add_f64 v[6:7], v[61:62], v[82:83]
	s_clause 0x1
	global_load_dwordx2 v[0:1], v[0:1], off
	global_load_dwordx4 v[80:83], v[66:67], off
	v_mul_f64 v[14:15], v[6:7], v[102:103]
	v_add_f64 v[6:7], v[104:105], v[58:59]
	v_mul_f64 v[16:17], v[6:7], v[74:75]
	v_mul_f64 v[22:23], v[14:15], v[113:114]
	s_waitcnt vmcnt(2)
	v_add_f64 v[2:3], v[78:79], v[2:3]
	v_fma_f64 v[30:31], v[10:11], v[47:48], v[22:23]
	v_mul_f64 v[2:3], v[2:3], v[18:19]
	global_load_dwordx4 v[18:21], v[117:118], off
	buffer_store_dword v86, off, s[36:39], 0 offset:540 ; 4-byte Folded Spill
	buffer_store_dword v87, off, s[36:39], 0 offset:544 ; 4-byte Folded Spill
	v_mul_f64 v[6:7], v[2:3], v[42:43]
	v_fma_f64 v[28:29], v[16:17], v[32:33], v[6:7]
	v_fma_f64 v[40:41], v[10:11], v[47:48], v[6:7]
	;; [unrolled: 1-line block ×3, first 2 shown]
	s_waitcnt vmcnt(1)
	v_add_f64 v[30:31], v[80:81], -v[0:1]
	v_mul_f64 v[28:29], v[28:29], v[30:31]
	v_mul_f64 v[30:31], v[16:17], v[32:33]
	v_fma_f64 v[40:41], 0xbfe80000, v[40:41], v[30:31]
	s_waitcnt vmcnt(0)
	v_add_f64 v[48:49], v[18:19], -v[0:1]
	v_mov_b32_e32 v79, v21
	v_mov_b32_e32 v78, v20
	v_fma_f64 v[28:29], v[40:41], v[48:49], v[28:29]
	v_add_co_u32 v40, vcc_lo, s16, v12
	v_add_co_ci_u32_e64 v41, null, s17, v13, vcc_lo
	v_add_f64 v[12:13], v[38:39], v[94:95]
	v_fma_f64 v[48:49], v[14:15], v[113:114], v[6:7]
	global_load_dwordx4 v[18:21], v[40:41], off
	s_waitcnt vmcnt(0)
	buffer_store_dword v18, off, s[36:39], 0 offset:812 ; 4-byte Folded Spill
	buffer_store_dword v19, off, s[36:39], 0 offset:816 ; 4-byte Folded Spill
	;; [unrolled: 1-line block ×4, first 2 shown]
	v_mul_f64 v[12:13], v[12:13], v[84:85]
	v_fma_f64 v[30:31], v[12:13], v[86:87], v[30:31]
	v_fma_f64 v[6:7], v[12:13], v[86:87], v[6:7]
	;; [unrolled: 1-line block ×4, first 2 shown]
	v_add_f64 v[48:49], v[18:19], -v[0:1]
	v_fma_f64 v[28:29], v[30:31], v[48:49], v[28:29]
	v_add_co_u32 v48, vcc_lo, s16, v24
	v_add_co_ci_u32_e64 v49, null, s17, v25, vcc_lo
	global_load_dwordx4 v[74:77], v[48:49], off
	buffer_store_dword v63, off, s[36:39], 0 offset:216 ; 4-byte Folded Spill
	buffer_store_dword v64, off, s[36:39], 0 offset:220 ; 4-byte Folded Spill
	;; [unrolled: 1-line block ×6, first 2 shown]
	s_waitcnt vmcnt(0)
	v_add_f64 v[0:1], v[74:75], -v[0:1]
	v_fma_f64 v[6:7], v[6:7], v[0:1], v[28:29]
	v_mul_f64 v[0:1], v[2:3], v[54:55]
	v_mul_f64 v[2:3], v[14:15], v[63:64]
	v_fma_f64 v[24:25], v[16:17], v[108:109], v[0:1]
	v_fma_f64 v[22:23], v[10:11], v[100:101], v[2:3]
	v_mul_f64 v[16:17], v[16:17], v[108:109]
	v_fma_f64 v[10:11], v[10:11], v[100:101], v[0:1]
	v_fma_f64 v[14:15], v[14:15], v[63:64], v[0:1]
	v_fma_f64 v[22:23], 0x40080000, v[24:25], v[22:23]
	v_add_co_u32 v24, vcc_lo, s16, v26
	v_add_co_ci_u32_e64 v25, null, s17, v27, vcc_lo
	v_add_co_u32 v26, vcc_lo, s16, v50
	v_add_co_ci_u32_e64 v27, null, s17, v51, vcc_lo
	buffer_store_dword v26, off, s[36:39], 0 offset:612 ; 4-byte Folded Spill
	buffer_store_dword v27, off, s[36:39], 0 offset:616 ; 4-byte Folded Spill
	v_add_co_u32 v28, vcc_lo, s16, v52
	v_add_co_ci_u32_e64 v29, null, s17, v53, vcc_lo
	buffer_store_dword v28, off, s[36:39], 0 offset:644 ; 4-byte Folded Spill
	buffer_store_dword v29, off, s[36:39], 0 offset:648 ; 4-byte Folded Spill
	v_fma_f64 v[10:11], 0xbfe80000, v[10:11], v[16:17]
	s_clause 0x1
	global_load_dwordx2 v[18:19], v[24:25], off
	global_load_dwordx4 v[24:27], v[26:27], off
	s_waitcnt vmcnt(0)
	buffer_store_dword v24, off, s[36:39], 0 offset:620 ; 4-byte Folded Spill
	buffer_store_dword v25, off, s[36:39], 0 offset:624 ; 4-byte Folded Spill
	;; [unrolled: 1-line block ×4, first 2 shown]
	v_add_f64 v[24:25], v[24:25], -v[18:19]
	v_mul_f64 v[22:23], v[22:23], v[24:25]
	global_load_dwordx4 v[24:27], v[28:29], off
	s_waitcnt vmcnt(0)
	buffer_store_dword v24, off, s[36:39], 0 offset:668 ; 4-byte Folded Spill
	buffer_store_dword v25, off, s[36:39], 0 offset:672 ; 4-byte Folded Spill
	;; [unrolled: 1-line block ×4, first 2 shown]
	v_add_f64 v[24:25], v[24:25], -v[18:19]
	v_fma_f64 v[10:11], v[10:11], v[24:25], v[22:23]
	v_add_co_u32 v22, vcc_lo, s16, v34
	v_add_co_ci_u32_e64 v23, null, s17, v35, vcc_lo
	buffer_store_dword v22, off, s[36:39], 0 offset:636 ; 4-byte Folded Spill
	buffer_store_dword v23, off, s[36:39], 0 offset:640 ; 4-byte Folded Spill
	;; [unrolled: 1-line block ×4, first 2 shown]
	v_add_co_u32 v8, vcc_lo, s16, v8
	v_add_co_ci_u32_e64 v9, null, s17, v9, vcc_lo
	global_load_dwordx4 v[22:25], v[22:23], off
	s_waitcnt vmcnt(0)
	buffer_store_dword v22, off, s[36:39], 0 offset:652 ; 4-byte Folded Spill
	buffer_store_dword v23, off, s[36:39], 0 offset:656 ; 4-byte Folded Spill
	;; [unrolled: 1-line block ×6, first 2 shown]
	v_fma_f64 v[16:17], v[12:13], v[56:57], v[16:17]
	v_fma_f64 v[0:1], v[12:13], v[56:57], v[0:1]
	v_mov_b32_e32 v56, v124
	v_mov_b32_e32 v57, v125
	;; [unrolled: 1-line block ×4, first 2 shown]
	v_fma_f64 v[14:15], 0x40080000, v[14:15], v[16:17]
	v_fma_f64 v[0:1], 0xbfe80000, v[0:1], v[2:3]
	v_add_f64 v[16:17], v[22:23], -v[18:19]
	v_fma_f64 v[10:11], v[14:15], v[16:17], v[10:11]
	global_load_dwordx4 v[12:15], v[8:9], off
	s_waitcnt vmcnt(0)
	buffer_store_dword v12, off, s[36:39], 0 offset:692 ; 4-byte Folded Spill
	buffer_store_dword v13, off, s[36:39], 0 offset:696 ; 4-byte Folded Spill
	;; [unrolled: 1-line block ×4, first 2 shown]
	v_add_f64 v[2:3], v[12:13], -v[18:19]
	v_fma_f64 v[8:9], v[0:1], v[2:3], v[10:11]
	global_load_dwordx4 v[0:3], v[96:97], off offset:-16
	s_clause 0x1
	buffer_load_dword v10, off, s[36:39], 0 offset:400
	buffer_load_dword v11, off, s[36:39], 0 offset:404
	s_waitcnt vmcnt(0)
	v_mul_f64 v[113:114], v[10:11], v[0:1]
	s_clause 0x1
	buffer_load_dword v0, off, s[36:39], 0 offset:408
	buffer_load_dword v1, off, s[36:39], 0 offset:412
	s_waitcnt vmcnt(0)
	v_mul_f64 v[74:75], v[0:1], v[2:3]
	v_fma_f64 v[0:1], v[6:7], s[0:1], v[4:5]
	buffer_store_dword v0, off, s[36:39], 0 offset:436 ; 4-byte Folded Spill
	buffer_store_dword v1, off, s[36:39], 0 offset:440 ; 4-byte Folded Spill
	v_mul_f64 v[0:1], v[8:9], s[0:1]
	buffer_store_dword v0, off, s[36:39], 0 offset:444 ; 4-byte Folded Spill
	buffer_store_dword v1, off, s[36:39], 0 offset:448 ; 4-byte Folded Spill
	s_clause 0x1
	global_load_dwordx4 v[10:13], v[110:111], off offset:-16
	global_load_dwordx4 v[2:5], v[36:37], off offset:-16
	s_mov_b32 s1, 0x3fb55555
	s_waitcnt vmcnt(0)
	v_add_f64 v[8:9], v[2:3], -v[10:11]
	v_mul_f64 v[16:17], v[8:9], s[0:1]
	s_clause 0x1
	global_load_dwordx4 v[6:9], v[98:99], off offset:-16
	global_load_dwordx4 v[20:23], v[70:71], off offset:-16
	s_waitcnt vmcnt(0)
	v_add_f64 v[18:19], v[6:7], -v[20:21]
	v_fma_f64 v[0:1], v[18:19], s[4:5], -v[16:17]
	s_clause 0x3
	global_load_dwordx4 v[28:31], v[117:118], off offset:-16
	global_load_dwordx4 v[16:19], v[48:49], off offset:-16
	;; [unrolled: 1-line block ×4, first 2 shown]
	s_clause 0x1
	buffer_load_dword v86, off, s[36:39], 0 offset:844
	buffer_load_dword v87, off, s[36:39], 0 offset:848
	s_waitcnt vmcnt(4)
	v_add_f64 v[14:15], v[16:17], -v[28:29]
	s_waitcnt vmcnt(2)
	v_add_f64 v[52:53], v[24:25], -v[32:33]
	v_mul_f64 v[14:15], v[14:15], s[0:1]
	v_fma_f64 v[14:15], v[52:53], s[4:5], -v[14:15]
	s_waitcnt vmcnt(0)
	global_load_dwordx4 v[52:55], v[86:87], off offset:-16
	s_clause 0x9
	buffer_load_dword v84, off, s[36:39], 0 offset:556
	buffer_load_dword v85, off, s[36:39], 0 offset:560
	buffer_load_dword v44, off, s[36:39], 0 offset:564
	buffer_load_dword v45, off, s[36:39], 0 offset:568
	buffer_load_dword v46, off, s[36:39], 0 offset:572
	buffer_load_dword v47, off, s[36:39], 0 offset:576
	buffer_load_dword v61, off, s[36:39], 0 offset:384
	buffer_load_dword v62, off, s[36:39], 0 offset:388
	buffer_load_dword v63, off, s[36:39], 0 offset:392
	buffer_load_dword v64, off, s[36:39], 0 offset:396
	s_waitcnt vmcnt(8)
	v_mul_f64 v[52:53], v[84:85], v[52:53]
	s_waitcnt vmcnt(6)
	v_mul_f64 v[52:53], v[44:45], v[52:53]
	v_mul_f64 v[14:15], v[14:15], v[52:53]
	;; [unrolled: 1-line block ×5, first 2 shown]
	v_add_f64 v[52:53], v[18:19], -v[30:31]
	s_waitcnt vmcnt(2)
	v_fma_f64 v[0:1], v[61:62], v[0:1], v[14:15]
	buffer_store_dword v0, off, s[36:39], 0 offset:596 ; 4-byte Folded Spill
	buffer_store_dword v1, off, s[36:39], 0 offset:600 ; 4-byte Folded Spill
	s_clause 0x1
	buffer_load_dword v38, off, s[36:39], 0 offset:548
	buffer_load_dword v39, off, s[36:39], 0 offset:552
	v_add_f64 v[0:1], v[4:5], -v[12:13]
	v_add_f64 v[14:15], v[8:9], -v[22:23]
	v_mul_f64 v[52:53], v[52:53], s[0:1]
	v_mul_f64 v[0:1], v[0:1], s[0:1]
	v_fma_f64 v[0:1], v[14:15], s[4:5], -v[0:1]
	s_waitcnt vmcnt(0)
	v_mul_f64 v[14:15], v[38:39], v[54:55]
	v_add_f64 v[54:55], v[26:27], -v[34:35]
	v_mul_f64 v[14:15], v[46:47], v[14:15]
	v_fma_f64 v[52:53], v[54:55], s[4:5], -v[52:53]
	v_add_nc_u32_e32 v54, s8, v60
	v_mul_f64 v[14:15], v[52:53], v[14:15]
	v_mul_f64 v[52:53], v[46:47], v[74:75]
	;; [unrolled: 1-line block ×4, first 2 shown]
	v_fma_f64 v[0:1], v[63:64], v[0:1], v[14:15]
	buffer_store_dword v0, off, s[36:39], 0 offset:604 ; 4-byte Folded Spill
	buffer_store_dword v1, off, s[36:39], 0 offset:608 ; 4-byte Folded Spill
	s_clause 0x2
	buffer_load_dword v0, off, s[36:39], 0 offset:416
	buffer_load_dword v14, off, s[36:39], 0 offset:368
	;; [unrolled: 1-line block ×3, first 2 shown]
	s_waitcnt vmcnt(2)
	v_add3_u32 v60, v0, s7, v54
	s_waitcnt vmcnt(0)
	v_add3_u32 v64, v42, s7, v54
	buffer_load_dword v42, off, s[36:39], 0 offset:360 ; 4-byte Folded Reload
	v_add3_u32 v61, v14, s7, v54
	v_add_nc_u32_e32 v0, v60, v107
	v_add_nc_u32_e32 v74, v60, v65
	;; [unrolled: 1-line block ×5, first 2 shown]
	v_ashrrev_i32_e32 v1, 31, v0
	v_add_nc_u32_e32 v100, v61, v65
	v_ashrrev_i32_e32 v53, 31, v52
	v_ashrrev_i32_e32 v75, 31, v74
	;; [unrolled: 1-line block ×3, first 2 shown]
	v_lshlrev_b64 v[0:1], 3, v[0:1]
	v_ashrrev_i32_e32 v101, 31, v100
	v_lshlrev_b64 v[52:53], 3, v[52:53]
	v_ashrrev_i32_e32 v127, 31, v126
	v_lshlrev_b64 v[14:15], 3, v[14:15]
	v_lshlrev_b64 v[74:75], 3, v[74:75]
	v_add_co_u32 v0, vcc_lo, s16, v0
	v_add_co_ci_u32_e64 v1, null, s17, v1, vcc_lo
	v_add_co_u32 v14, vcc_lo, s16, v14
	v_add_co_ci_u32_e64 v15, null, s17, v15, vcc_lo
	v_add_co_u32 v52, vcc_lo, s16, v52
	v_lshlrev_b64 v[100:101], 3, v[100:101]
	v_add_co_ci_u32_e64 v53, null, s17, v53, vcc_lo
	v_lshlrev_b64 v[126:127], 3, v[126:127]
	v_add_nc_u32_e32 v94, v60, v112
	v_add_nc_u32_e32 v122, v61, v112
	v_ashrrev_i32_e32 v95, 31, v94
	v_ashrrev_i32_e32 v123, 31, v122
	v_lshlrev_b64 v[94:95], 3, v[94:95]
	v_lshlrev_b64 v[122:123], 3, v[122:123]
	s_waitcnt vmcnt(0)
	v_add3_u32 v80, v42, s7, v54
	s_mul_i32 s7, s6, 3
	v_add_nc_u32_e32 v54, v80, v107
	v_add_nc_u32_e32 v68, v80, v65
	v_ashrrev_i32_e32 v55, 31, v54
	v_ashrrev_i32_e32 v69, 31, v68
	v_lshlrev_b64 v[54:55], 3, v[54:55]
	v_lshlrev_b64 v[68:69], 3, v[68:69]
	v_add_co_u32 v54, vcc_lo, s16, v54
	v_add_co_ci_u32_e64 v55, null, s17, v55, vcc_lo
	v_add_co_u32 v74, vcc_lo, s16, v74
	v_add_co_ci_u32_e64 v75, null, s17, v75, vcc_lo
	;; [unrolled: 2-line block ×5, first 2 shown]
	s_clause 0x7
	global_load_dwordx2 v[74:75], v[74:75], off
	global_load_dwordx2 v[100:101], v[100:101], off
	global_load_dwordx2 v[126:127], v[126:127], off
	global_load_dwordx2 v[68:69], v[68:69], off
	global_load_dwordx2 v[0:1], v[0:1], off
	global_load_dwordx2 v[14:15], v[14:15], off
	global_load_dwordx2 v[52:53], v[52:53], off
	global_load_dwordx2 v[54:55], v[54:55], off
	s_clause 0x1
	buffer_load_dword v42, off, s[36:39], 0 offset:332
	buffer_load_dword v43, off, s[36:39], 0 offset:336
	s_waitcnt vmcnt(8)
	v_add_f64 v[113:114], v[74:75], -v[100:101]
	s_waitcnt vmcnt(6)
	v_add_f64 v[124:125], v[126:127], -v[68:69]
	;; [unrolled: 2-line block ×3, first 2 shown]
	v_mul_f64 v[113:114], v[113:114], s[0:1]
	v_fma_f64 v[113:114], v[124:125], s[4:5], -v[113:114]
	v_add_f64 v[124:125], v[0:1], -v[14:15]
	v_add_f64 v[0:1], v[0:1], -v[74:75]
	v_add_f64 v[14:15], v[14:15], -v[100:101]
	s_waitcnt vmcnt(0)
	v_mul_f64 v[113:114], v[42:43], v[113:114]
	s_clause 0x1
	buffer_load_dword v42, off, s[36:39], 0 offset:424
	buffer_load_dword v43, off, s[36:39], 0 offset:428
	v_mul_f64 v[124:125], v[124:125], s[0:1]
	v_mul_f64 v[0:1], v[0:1], s[0:1]
	;; [unrolled: 1-line block ×3, first 2 shown]
	v_fma_f64 v[104:105], v[104:105], s[4:5], -v[124:125]
	v_add_nc_u32_e32 v124, v64, v106
	v_add_nc_u32_e32 v64, v64, v112
	v_ashrrev_i32_e32 v125, 31, v124
	v_ashrrev_i32_e32 v65, 31, v64
	v_lshlrev_b64 v[124:125], 3, v[124:125]
	v_lshlrev_b64 v[64:65], 3, v[64:65]
	s_waitcnt vmcnt(0)
	v_fma_f64 v[42:43], v[42:43], v[104:105], -v[113:114]
	v_add_nc_u32_e32 v104, v60, v106
	v_add_nc_u32_e32 v113, v61, v106
	;; [unrolled: 1-line block ×4, first 2 shown]
	buffer_store_dword v42, off, s[36:39], 0 offset:452 ; 4-byte Folded Spill
	buffer_store_dword v43, off, s[36:39], 0 offset:456 ; 4-byte Folded Spill
	v_ashrrev_i32_e32 v105, 31, v104
	v_ashrrev_i32_e32 v114, 31, v113
	;; [unrolled: 1-line block ×4, first 2 shown]
	v_lshlrev_b64 v[104:105], 3, v[104:105]
	v_lshlrev_b64 v[113:114], 3, v[113:114]
	;; [unrolled: 1-line block ×4, first 2 shown]
	v_add_co_u32 v104, vcc_lo, s16, v104
	v_add_co_ci_u32_e64 v105, null, s17, v105, vcc_lo
	v_add_co_u32 v113, vcc_lo, s16, v113
	v_add_co_ci_u32_e64 v114, null, s17, v114, vcc_lo
	;; [unrolled: 2-line block ×8, first 2 shown]
	s_clause 0x3
	global_load_dwordx2 v[94:95], v[94:95], off
	global_load_dwordx2 v[122:123], v[122:123], off
	;; [unrolled: 1-line block ×4, first 2 shown]
	s_waitcnt vmcnt(2)
	v_add_f64 v[108:109], v[94:95], -v[122:123]
	s_waitcnt vmcnt(0)
	v_add_f64 v[80:81], v[64:65], -v[60:61]
	v_mul_f64 v[108:109], v[108:109], s[0:1]
	v_fma_f64 v[80:81], v[80:81], s[4:5], -v[108:109]
	s_clause 0x3
	global_load_dwordx2 v[104:105], v[104:105], off
	global_load_dwordx2 v[108:109], v[113:114], off
	;; [unrolled: 1-line block ×4, first 2 shown]
	s_clause 0x1
	buffer_load_dword v42, off, s[36:39], 0 offset:324
	buffer_load_dword v43, off, s[36:39], 0 offset:328
	s_waitcnt vmcnt(5)
	v_add_f64 v[74:75], v[104:105], -v[94:95]
	s_waitcnt vmcnt(4)
	v_add_f64 v[106:107], v[104:105], -v[108:109]
	;; [unrolled: 2-line block ×3, first 2 shown]
	s_waitcnt vmcnt(0)
	v_mul_f64 v[80:81], v[42:43], v[80:81]
	s_clause 0x1
	buffer_load_dword v42, off, s[36:39], 0 offset:352
	buffer_load_dword v43, off, s[36:39], 0 offset:356
	v_fma_f64 v[0:1], v[74:75], s[4:5], -v[0:1]
	v_mul_f64 v[106:107], v[106:107], s[0:1]
	v_add_f64 v[74:75], v[108:109], -v[122:123]
	v_fma_f64 v[102:103], v[102:103], s[4:5], -v[106:107]
	v_fma_f64 v[14:15], v[74:75], s[4:5], -v[14:15]
	s_waitcnt vmcnt(0)
	v_fma_f64 v[42:43], v[42:43], v[102:103], -v[80:81]
	buffer_store_dword v42, off, s[36:39], 0 offset:460 ; 4-byte Folded Spill
	buffer_store_dword v43, off, s[36:39], 0 offset:464 ; 4-byte Folded Spill
	s_clause 0x3
	buffer_load_dword v94, off, s[36:39], 0 offset:524
	buffer_load_dword v95, off, s[36:39], 0 offset:528
	;; [unrolled: 1-line block ×4, first 2 shown]
	v_mov_b32_e32 v103, v47
	v_mov_b32_e32 v101, v45
	;; [unrolled: 1-line block ×6, first 2 shown]
	v_mul_f64 v[74:75], v[84:85], v[100:101]
	v_mul_f64 v[74:75], v[100:101], v[74:75]
	;; [unrolled: 1-line block ×3, first 2 shown]
	s_waitcnt vmcnt(0)
	v_mul_f64 v[74:75], v[62:63], v[94:95]
	v_mul_f64 v[74:75], v[94:95], v[74:75]
	v_fma_f64 v[0:1], v[74:75], v[0:1], -v[14:15]
	buffer_store_dword v0, off, s[36:39], 0 offset:324 ; 4-byte Folded Spill
	buffer_store_dword v1, off, s[36:39], 0 offset:328 ; 4-byte Folded Spill
	s_clause 0x5
	buffer_load_dword v42, off, s[36:39], 0 offset:500
	buffer_load_dword v43, off, s[36:39], 0 offset:504
	;; [unrolled: 1-line block ×6, first 2 shown]
	v_add_f64 v[0:1], v[52:53], -v[126:127]
	v_add_f64 v[14:15], v[112:113], -v[64:65]
	;; [unrolled: 1-line block ×3, first 2 shown]
	v_mul_f64 v[0:1], v[0:1], s[0:1]
	v_mul_f64 v[52:53], v[52:53], s[0:1]
	v_fma_f64 v[0:1], v[14:15], s[4:5], -v[0:1]
	v_add_f64 v[14:15], v[124:125], -v[60:61]
	v_fma_f64 v[14:15], v[14:15], s[4:5], -v[52:53]
	v_mul_f64 v[52:53], v[38:39], v[102:103]
	v_mul_f64 v[52:53], v[102:103], v[52:53]
	;; [unrolled: 1-line block ×3, first 2 shown]
	s_waitcnt vmcnt(2)
	v_mov_b32_e32 v69, v45
	v_mov_b32_e32 v68, v44
	s_waitcnt vmcnt(0)
	v_mul_f64 v[52:53], v[42:43], v[68:69]
	v_mul_f64 v[52:53], v[68:69], v[52:53]
	v_fma_f64 v[0:1], v[52:53], v[0:1], -v[14:15]
	buffer_store_dword v0, off, s[36:39], 0 offset:332 ; 4-byte Folded Spill
	buffer_store_dword v1, off, s[36:39], 0 offset:336 ; 4-byte Folded Spill
	s_clause 0x5
	buffer_load_dword v0, off, s[36:39], 0 offset:344
	buffer_load_dword v1, off, s[36:39], 0 offset:348
	buffer_load_dword v44, off, s[36:39], 0 offset:828
	buffer_load_dword v45, off, s[36:39], 0 offset:832
	buffer_load_dword v46, off, s[36:39], 0 offset:836
	buffer_load_dword v47, off, s[36:39], 0 offset:840
	global_load_dwordx2 v[60:61], v[36:37], off offset:16
	v_add_co_u32 v14, vcc_lo, s22, v92
	v_add_co_ci_u32_e64 v15, null, s23, v93, vcc_lo
	s_waitcnt vmcnt(1)
	v_mul_f64 v[0:1], v[0:1], v[46:47]
	s_clause 0x3
	buffer_load_dword v44, off, s[36:39], 0 offset:796
	buffer_load_dword v45, off, s[36:39], 0 offset:800
	;; [unrolled: 1-line block ×4, first 2 shown]
	s_waitcnt vmcnt(4)
	v_add_f64 v[2:3], v[60:61], -v[2:3]
	v_mul_f64 v[0:1], v[68:69], v[0:1]
	v_mul_f64 v[2:3], v[2:3], s[0:1]
	s_waitcnt vmcnt(0)
	v_mov_b32_e32 v51, v47
	v_mov_b32_e32 v50, v46
	s_clause 0x3
	buffer_load_dword v44, off, s[36:39], 0 offset:740
	buffer_load_dword v45, off, s[36:39], 0 offset:744
	;; [unrolled: 1-line block ×4, first 2 shown]
	global_load_dwordx2 v[64:65], v[110:111], off offset:16
	global_load_dwordx2 v[54:55], v[14:15], off
	s_clause 0x1
	buffer_load_dword v14, off, s[36:39], 0 offset:756
	buffer_load_dword v15, off, s[36:39], 0 offset:760
	v_add_f64 v[4:5], v[50:51], -v[4:5]
	v_fma_f64 v[2:3], v[4:5], s[4:5], -v[2:3]
	v_add_co_u32 v4, vcc_lo, s22, v115
	v_add_co_ci_u32_e64 v5, null, s23, v116, vcc_lo
	v_mov_b32_e32 v115, v59
	v_mov_b32_e32 v113, v57
	;; [unrolled: 1-line block ×3, first 2 shown]
	global_load_dwordx2 v[52:53], v[4:5], off
	s_clause 0x1
	buffer_load_dword v4, off, s[36:39], 0 offset:476
	buffer_load_dword v5, off, s[36:39], 0 offset:480
	v_mov_b32_e32 v114, v58
	s_waitcnt vmcnt(7)
	v_mov_b32_e32 v36, v46
	s_waitcnt vmcnt(6)
	v_add_f64 v[10:11], v[64:65], -v[10:11]
	v_mov_b32_e32 v37, v47
	s_waitcnt vmcnt(3)
	v_mul_f64 v[14:15], v[14:15], v[54:55]
	v_add_f64 v[12:13], v[36:37], -v[12:13]
	v_add_f64 v[44:45], v[50:51], -v[36:37]
	v_add_co_u32 v50, vcc_lo, s22, v72
	v_add_co_ci_u32_e64 v51, null, s23, v73, vcc_lo
	v_add_co_u32 v46, vcc_lo, s22, v119
	v_add_co_ci_u32_e64 v47, null, s23, v120, vcc_lo
	v_mov_b32_e32 v36, v78
	v_mov_b32_e32 v37, v79
	v_mul_f64 v[10:11], v[10:11], s[0:1]
	v_mul_f64 v[2:3], v[14:15], v[2:3]
	s_waitcnt vmcnt(0)
	v_mul_f64 v[4:5], v[4:5], v[52:53]
	v_fma_f64 v[10:11], v[12:13], s[4:5], -v[10:11]
	global_load_dwordx2 v[12:13], v[98:99], off offset:16
	s_clause 0x3
	buffer_load_dword v72, off, s[36:39], 0 offset:764
	buffer_load_dword v73, off, s[36:39], 0 offset:768
	;; [unrolled: 1-line block ×4, first 2 shown]
	v_mul_f64 v[10:11], v[4:5], v[10:11]
	s_waitcnt vmcnt(4)
	v_add_f64 v[4:5], v[12:13], -v[6:7]
	s_waitcnt vmcnt(0)
	v_mov_b32_e32 v14, v74
	v_mov_b32_e32 v15, v75
	v_add_f64 v[6:7], v[14:15], -v[8:9]
	v_mul_f64 v[4:5], v[4:5], s[0:1]
	v_fma_f64 v[4:5], v[6:7], s[4:5], -v[4:5]
	s_clause 0x3
	buffer_load_dword v6, off, s[36:39], 0 offset:724
	buffer_load_dword v7, off, s[36:39], 0 offset:728
	;; [unrolled: 1-line block ×4, first 2 shown]
	global_load_dwordx2 v[84:85], v[50:51], off
	s_waitcnt vmcnt(1)
	v_add_f64 v[6:7], v[14:15], -v[8:9]
	v_add_f64 v[8:9], v[8:9], -v[22:23]
	global_load_dwordx2 v[14:15], v[70:71], off offset:16
	s_clause 0x1
	buffer_load_dword v22, off, s[36:39], 0 offset:716
	buffer_load_dword v23, off, s[36:39], 0 offset:720
	global_load_dwordx2 v[106:107], v[46:47], off
	s_waitcnt vmcnt(3)
	v_add_f64 v[20:21], v[14:15], -v[20:21]
	s_waitcnt vmcnt(1)
	v_mul_f64 v[22:23], v[22:23], v[84:85]
	v_add_f64 v[12:13], v[12:13], -v[14:15]
	v_mul_f64 v[22:23], v[22:23], v[4:5]
	v_mul_f64 v[4:5], v[20:21], s[0:1]
	v_fma_f64 v[8:9], v[8:9], s[4:5], -v[4:5]
	s_clause 0x1
	buffer_load_dword v4, off, s[36:39], 0 offset:708
	buffer_load_dword v5, off, s[36:39], 0 offset:712
	s_waitcnt vmcnt(0)
	v_mul_f64 v[20:21], v[4:5], v[106:107]
	v_mov_b32_e32 v4, v42
	v_mov_b32_e32 v5, v43
	v_mul_f64 v[8:9], v[20:21], v[8:9]
	v_mul_f64 v[20:21], v[44:45], s[0:1]
	s_clause 0x7
	buffer_load_dword v44, off, s[36:39], 0 offset:780
	buffer_load_dword v45, off, s[36:39], 0 offset:784
	;; [unrolled: 1-line block ×8, first 2 shown]
	s_waitcnt vmcnt(6)
	v_add_f64 v[44:45], v[76:77], -v[36:37]
	v_fma_f64 v[6:7], v[6:7], s[4:5], -v[20:21]
	v_mul_f64 v[44:45], v[44:45], s[0:1]
	v_mul_f64 v[0:1], v[6:7], v[0:1]
	s_waitcnt vmcnt(4)
	v_mul_f64 v[20:21], v[42:43], v[46:47]
	s_waitcnt vmcnt(0)
	v_mov_b32_e32 v42, v72
	v_mov_b32_e32 v43, v73
	v_add_f64 v[46:47], v[42:43], -v[82:83]
	v_mul_f64 v[20:21], v[68:69], v[20:21]
	v_fma_f64 v[44:45], v[46:47], s[4:5], -v[44:45]
	v_mul_f64 v[20:21], v[44:45], v[20:21]
	v_mul_f64 v[6:7], v[56:57], v[20:21]
	v_fma_f64 v[78:79], v[90:91], v[0:1], v[6:7]
	v_mul_f64 v[0:1], v[88:89], v[2:3]
	buffer_store_dword v0, off, s[36:39], 0 offset:400 ; 4-byte Folded Spill
	buffer_store_dword v1, off, s[36:39], 0 offset:404 ; 4-byte Folded Spill
	v_mul_f64 v[0:1], v[88:89], v[10:11]
	buffer_store_dword v0, off, s[36:39], 0 offset:360 ; 4-byte Folded Spill
	buffer_store_dword v1, off, s[36:39], 0 offset:364 ; 4-byte Folded Spill
	;; [unrolled: 3-line block ×4, first 2 shown]
	v_add_f64 v[0:1], v[76:77], -v[18:19]
	buffer_store_dword v0, off, s[36:39], 0 offset:476 ; 4-byte Folded Spill
	buffer_store_dword v1, off, s[36:39], 0 offset:480 ; 4-byte Folded Spill
	v_add_f64 v[0:1], v[36:37], -v[30:31]
	global_load_dwordx2 v[2:3], v[48:49], off offset:16
	buffer_store_dword v0, off, s[36:39], 0 offset:416 ; 4-byte Folded Spill
	buffer_store_dword v1, off, s[36:39], 0 offset:420 ; 4-byte Folded Spill
	global_load_dwordx2 v[6:7], v[117:118], off offset:16
	s_waitcnt vmcnt(1)
	v_add_f64 v[50:51], v[2:3], -v[16:17]
	v_add_f64 v[16:17], v[60:61], -v[64:65]
	s_waitcnt vmcnt(0)
	v_add_f64 v[0:1], v[6:7], -v[28:29]
	buffer_store_dword v0, off, s[36:39], 0 offset:424 ; 4-byte Folded Spill
	buffer_store_dword v1, off, s[36:39], 0 offset:428 ; 4-byte Folded Spill
	v_add_f64 v[0:1], v[42:43], -v[26:27]
	buffer_store_dword v0, off, s[36:39], 0 offset:384 ; 4-byte Folded Spill
	buffer_store_dword v1, off, s[36:39], 0 offset:388 ; 4-byte Folded Spill
	global_load_dwordx2 v[8:9], v[40:41], off offset:16
	v_add_f64 v[6:7], v[2:3], -v[6:7]
	v_mov_b32_e32 v26, v62
	v_mov_b32_e32 v27, v63
	v_mul_f64 v[2:3], v[16:17], s[0:1]
	v_mul_f64 v[6:7], v[6:7], s[0:1]
	v_fma_f64 v[2:3], v[12:13], s[4:5], -v[2:3]
	s_waitcnt vmcnt(0)
	v_add_f64 v[0:1], v[8:9], -v[24:25]
	buffer_store_dword v0, off, s[36:39], 0 offset:408 ; 4-byte Folded Spill
	buffer_store_dword v1, off, s[36:39], 0 offset:412 ; 4-byte Folded Spill
	v_add_f64 v[0:1], v[82:83], -v[34:35]
	buffer_store_dword v0, off, s[36:39], 0 offset:368 ; 4-byte Folded Spill
	buffer_store_dword v1, off, s[36:39], 0 offset:372 ; 4-byte Folded Spill
	global_load_dwordx2 v[10:11], v[66:67], off offset:16
	s_waitcnt vmcnt(0)
	v_add_f64 v[0:1], v[10:11], -v[32:33]
	v_add_f64 v[8:9], v[8:9], -v[10:11]
	buffer_store_dword v0, off, s[36:39], 0 offset:376 ; 4-byte Folded Spill
	buffer_store_dword v1, off, s[36:39], 0 offset:380 ; 4-byte Folded Spill
	global_load_dwordx2 v[0:1], v[96:97], off offset:16
	s_clause 0x1
	buffer_load_dword v18, off, s[36:39], 0 offset:484
	buffer_load_dword v19, off, s[36:39], 0 offset:488
	v_fma_f64 v[8:9], v[8:9], s[4:5], -v[6:7]
	global_load_dwordx2 v[6:7], v[86:87], off offset:16
	s_waitcnt vmcnt(1)
	v_mul_f64 v[0:1], v[18:19], v[0:1]
	s_waitcnt vmcnt(0)
	v_mul_f64 v[6:7], v[26:27], v[6:7]
	v_mul_f64 v[0:1], v[94:95], v[0:1]
	;; [unrolled: 1-line block ×6, first 2 shown]
	s_clause 0x3
	buffer_load_dword v6, off, s[36:39], 0 offset:468
	buffer_load_dword v7, off, s[36:39], 0 offset:472
	;; [unrolled: 1-line block ×4, first 2 shown]
	s_waitcnt vmcnt(2)
	v_fma_f64 v[6:7], v[6:7], v[0:1], v[2:3]
	s_waitcnt vmcnt(0)
	global_load_dwordx4 v[0:3], v[18:19], off offset:-16
	s_clause 0x9
	buffer_load_dword v10, off, s[36:39], 0 offset:692
	buffer_load_dword v11, off, s[36:39], 0 offset:696
	;; [unrolled: 1-line block ×10, first 2 shown]
	global_load_dwordx2 v[20:21], v[18:19], off offset:16
	s_waitcnt vmcnt(7)
	v_add_f64 v[36:37], v[12:13], -v[2:3]
	s_waitcnt vmcnt(3)
	v_add_f64 v[8:9], v[12:13], -v[10:11]
	s_waitcnt vmcnt(1)
	global_load_dwordx4 v[12:15], v[16:17], off offset:-16
	s_waitcnt vmcnt(1)
	v_add_f64 v[44:45], v[20:21], -v[0:1]
	v_mul_f64 v[44:45], v[44:45], s[0:1]
	v_fma_f64 v[44:45], v[36:37], s[4:5], -v[44:45]
	s_waitcnt vmcnt(0)
	v_add_f64 v[40:41], v[10:11], -v[14:15]
	v_add_f64 v[10:11], v[2:3], -v[14:15]
	global_load_dwordx2 v[14:15], v[16:17], off offset:16
	s_clause 0x1
	buffer_load_dword v32, off, s[36:39], 0 offset:636
	buffer_load_dword v33, off, s[36:39], 0 offset:640
	v_add_f64 v[22:23], v[0:1], -v[12:13]
	s_waitcnt vmcnt(2)
	v_add_f64 v[60:61], v[14:15], -v[12:13]
	s_waitcnt vmcnt(0)
	global_load_dwordx4 v[0:3], v[32:33], off offset:-16
	s_clause 0x3
	buffer_load_dword v16, off, s[36:39], 0 offset:652
	buffer_load_dword v17, off, s[36:39], 0 offset:656
	;; [unrolled: 1-line block ×4, first 2 shown]
	v_add_f64 v[20:21], v[20:21], -v[14:15]
	s_waitcnt vmcnt(0)
	v_mov_b32_e32 v12, v18
	v_mov_b32_e32 v13, v19
	s_clause 0x5
	buffer_load_dword v16, off, s[36:39], 0 offset:620
	buffer_load_dword v17, off, s[36:39], 0 offset:624
	;; [unrolled: 1-line block ×6, first 2 shown]
	v_add_f64 v[62:63], v[12:13], -v[2:3]
	s_waitcnt vmcnt(2)
	v_mov_b32_e32 v25, v19
	v_mov_b32_e32 v24, v18
	s_waitcnt vmcnt(0)
	global_load_dwordx4 v[16:19], v[30:31], off offset:-16
	s_clause 0x1
	buffer_load_dword v28, off, s[36:39], 0 offset:532
	buffer_load_dword v29, off, s[36:39], 0 offset:536
	v_add_f64 v[12:13], v[12:13], -v[24:25]
	s_waitcnt vmcnt(2)
	v_add_f64 v[66:67], v[24:25], -v[18:19]
	s_waitcnt vmcnt(0)
	global_load_dwordx2 v[24:25], v[28:29], off offset:16
	v_add_f64 v[14:15], v[2:3], -v[18:19]
	v_mul_f64 v[18:19], v[20:21], s[0:1]
	global_load_dwordx2 v[2:3], v[30:31], off offset:16
	s_waitcnt vmcnt(1)
	v_mul_f64 v[24:25], v[26:27], v[24:25]
	global_load_dwordx2 v[26:27], v[32:33], off offset:16
	s_waitcnt vmcnt(1)
	v_add_f64 v[42:43], v[2:3], -v[16:17]
	s_waitcnt vmcnt(0)
	v_add_f64 v[2:3], v[26:27], -v[2:3]
	v_add_f64 v[56:57], v[26:27], -v[0:1]
	;; [unrolled: 1-line block ×3, first 2 shown]
	v_mul_f64 v[16:17], v[94:95], v[24:25]
	v_fma_f64 v[2:3], v[2:3], s[4:5], -v[18:19]
	v_mul_f64 v[56:57], v[56:57], s[0:1]
	v_fma_f64 v[2:3], v[2:3], v[16:17], v[6:7]
	buffer_store_dword v2, off, s[36:39], 0 offset:468 ; 4-byte Folded Spill
	buffer_store_dword v3, off, s[36:39], 0 offset:472 ; 4-byte Folded Spill
	s_clause 0x3
	buffer_load_dword v16, off, s[36:39], 0 offset:580
	buffer_load_dword v17, off, s[36:39], 0 offset:584
	;; [unrolled: 1-line block ×4, first 2 shown]
	v_mul_f64 v[2:3], v[22:23], s[0:1]
	v_mul_f64 v[6:7], v[8:9], s[0:1]
	v_fma_f64 v[36:37], v[62:63], s[4:5], -v[56:57]
	v_fma_f64 v[2:3], v[0:1], s[4:5], -v[2:3]
	;; [unrolled: 1-line block ×3, first 2 shown]
	s_waitcnt vmcnt(0)
	v_mul_f64 v[20:21], v[4:5], v[18:19]
	global_load_dwordx4 v[16:19], v[28:29], off offset:-16
	s_clause 0x1
	buffer_load_dword v4, off, s[36:39], 0 offset:596
	buffer_load_dword v5, off, s[36:39], 0 offset:600
	s_waitcnt vmcnt(2)
	v_mul_f64 v[0:1], v[80:81], v[16:17]
	v_mul_f64 v[0:1], v[100:101], v[0:1]
	s_waitcnt vmcnt(0)
	v_fma_f64 v[0:1], v[2:3], v[0:1], v[4:5]
	buffer_store_dword v0, off, s[36:39], 0 offset:484 ; 4-byte Folded Spill
	buffer_store_dword v1, off, s[36:39], 0 offset:488 ; 4-byte Folded Spill
	s_clause 0x1
	buffer_load_dword v4, off, s[36:39], 0 offset:604
	buffer_load_dword v5, off, s[36:39], 0 offset:608
	v_mul_f64 v[0:1], v[68:69], v[20:21]
	v_mul_f64 v[2:3], v[38:39], v[18:19]
	v_fma_f64 v[116:117], v[6:7], v[0:1], v[78:79]
	v_mul_f64 v[0:1], v[102:103], v[2:3]
	v_mul_f64 v[2:3], v[10:11], s[0:1]
	v_fma_f64 v[2:3], v[14:15], s[4:5], -v[2:3]
	s_waitcnt vmcnt(0)
	v_fma_f64 v[76:77], v[2:3], v[0:1], v[4:5]
	s_clause 0x4
	buffer_load_dword v21, off, s[36:39], 0 offset:240
	buffer_load_dword v2, off, s[36:39], 0 offset:432
	;; [unrolled: 1-line block ×5, first 2 shown]
	s_waitcnt vmcnt(4)
	v_add3_u32 v101, v21, v121, s6
	s_waitcnt vmcnt(3)
	v_add3_u32 v15, v21, v2, s6
	v_mov_b32_e32 v4, v2
	s_waitcnt vmcnt(2)
	v_mov_b32_e32 v28, v18
	s_waitcnt vmcnt(0)
	v_add3_u32 v34, v20, v121, s6
	v_ashrrev_i32_e32 v102, 31, v101
	v_ashrrev_i32_e32 v16, 31, v15
	v_add3_u32 v123, v19, v4, s6
	v_add3_u32 v30, v20, v4, s6
	v_ashrrev_i32_e32 v35, 31, v34
	v_mov_b32_e32 v29, v19
	v_lshlrev_b64 v[0:1], 3, v[15:16]
	v_add3_u32 v16, v18, v2, s6
	v_ashrrev_i32_e32 v124, 31, v123
	v_ashrrev_i32_e32 v31, 31, v30
	v_mov_b32_e32 v23, v21
	v_mov_b32_e32 v14, v20
	v_ashrrev_i32_e32 v17, 31, v16
	v_lshlrev_b64 v[6:7], 3, v[123:124]
	v_add_co_u32 v0, vcc_lo, s16, v0
	v_lshlrev_b64 v[8:9], 3, v[30:31]
	v_lshlrev_b64 v[2:3], 3, v[16:17]
	v_add_co_ci_u32_e64 v1, null, s17, v1, vcc_lo
	v_add3_u32 v17, v18, v121, s6
	v_add3_u32 v31, v19, v121, s6
	v_add_co_u32 v2, vcc_lo, s16, v2
	v_add_co_ci_u32_e64 v3, null, s17, v3, vcc_lo
	v_add_co_u32 v6, vcc_lo, s16, v6
	v_add_co_ci_u32_e64 v7, null, s17, v7, vcc_lo
	;; [unrolled: 2-line block ×3, first 2 shown]
	s_clause 0x3
	global_load_dwordx2 v[92:93], v[0:1], off
	global_load_dwordx2 v[78:79], v[2:3], off
	global_load_dwordx2 v[38:39], v[6:7], off
	global_load_dwordx2 v[99:100], v[8:9], off
	v_ashrrev_i32_e32 v18, 31, v17
	v_ashrrev_i32_e32 v32, 31, v31
	v_lshlrev_b64 v[8:9], 3, v[34:35]
	v_add_nc_u32_e32 v62, s6, v31
	v_lshlrev_b64 v[6:7], 3, v[31:32]
	v_ashrrev_i32_e32 v63, 31, v62
	v_lshlrev_b64 v[62:63], 3, v[62:63]
	s_waitcnt vmcnt(2)
	v_add_f64 v[0:1], v[92:93], -v[78:79]
	s_waitcnt vmcnt(0)
	v_add_f64 v[2:3], v[38:39], -v[99:100]
	v_mul_f64 v[0:1], v[0:1], s[0:1]
	v_fma_f64 v[26:27], v[2:3], s[4:5], -v[0:1]
	v_lshlrev_b64 v[0:1], 3, v[101:102]
	v_lshlrev_b64 v[2:3], 3, v[17:18]
	v_add_co_u32 v0, vcc_lo, s16, v0
	v_add_co_ci_u32_e64 v1, null, s17, v1, vcc_lo
	v_add_co_u32 v2, vcc_lo, s16, v2
	v_add_co_ci_u32_e64 v3, null, s17, v3, vcc_lo
	;; [unrolled: 2-line block ×4, first 2 shown]
	s_clause 0x3
	global_load_dwordx2 v[102:103], v[0:1], off
	global_load_dwordx2 v[110:111], v[2:3], off
	;; [unrolled: 1-line block ×4, first 2 shown]
	s_waitcnt vmcnt(2)
	v_add_f64 v[0:1], v[102:103], -v[110:111]
	s_waitcnt vmcnt(1)
	v_add_f64 v[38:39], v[38:39], -v[64:65]
	;; [unrolled: 2-line block ×3, first 2 shown]
	v_mul_f64 v[0:1], v[0:1], s[0:1]
	v_mul_f64 v[38:39], v[38:39], s[0:1]
	v_fma_f64 v[48:49], v[2:3], s[4:5], -v[0:1]
	buffer_load_dword v2, off, s[36:39], 0 offset:340 ; 4-byte Folded Reload
	s_waitcnt vmcnt(0)
	v_mov_b32_e32 v4, v2
	v_add3_u32 v120, v23, v2, s6
	v_add3_u32 v118, v28, v2, s6
	;; [unrolled: 1-line block ×3, first 2 shown]
	v_ashrrev_i32_e32 v121, 31, v120
	v_ashrrev_i32_e32 v119, 31, v118
	;; [unrolled: 1-line block ×3, first 2 shown]
	v_lshlrev_b64 v[0:1], 3, v[120:121]
	v_lshlrev_b64 v[2:3], 3, v[118:119]
	;; [unrolled: 1-line block ×3, first 2 shown]
	v_add3_u32 v21, v14, v4, s6
	v_add_co_u32 v0, vcc_lo, s16, v0
	v_add_co_ci_u32_e64 v1, null, s17, v1, vcc_lo
	v_ashrrev_i32_e32 v22, 31, v21
	v_add_co_u32 v2, vcc_lo, s16, v2
	v_add_co_ci_u32_e64 v3, null, s17, v3, vcc_lo
	v_lshlrev_b64 v[8:9], 3, v[21:22]
	v_add_co_u32 v6, vcc_lo, s16, v6
	v_add_co_ci_u32_e64 v7, null, s17, v7, vcc_lo
	v_add_co_u32 v8, vcc_lo, s16, v8
	v_add_co_ci_u32_e64 v9, null, s17, v9, vcc_lo
	s_clause 0x3
	global_load_dwordx2 v[124:125], v[0:1], off
	global_load_dwordx2 v[82:83], v[2:3], off
	;; [unrolled: 1-line block ×4, first 2 shown]
	buffer_load_dword v4, off, s[36:39], 0 offset:264 ; 4-byte Folded Reload
	s_waitcnt vmcnt(3)
	v_add_f64 v[0:1], v[124:125], -v[82:83]
	s_waitcnt vmcnt(1)
	v_add_f64 v[8:9], v[6:7], -v[2:3]
	s_waitcnt vmcnt(0)
	v_add3_u32 v126, v28, v4, s6
	v_ashrrev_i32_e32 v127, 31, v126
	v_mul_f64 v[0:1], v[0:1], s[0:1]
	v_fma_f64 v[8:9], v[8:9], s[4:5], -v[0:1]
	v_add3_u32 v0, v23, v4, s6
	v_ashrrev_i32_e32 v1, 31, v0
	v_lshlrev_b64 v[22:23], 3, v[0:1]
	v_add_co_u32 v24, vcc_lo, s16, v22
	v_add_co_ci_u32_e64 v25, null, s17, v23, vcc_lo
	v_lshlrev_b64 v[22:23], 3, v[126:127]
	v_add_co_u32 v32, vcc_lo, s16, v22
	v_add3_u32 v22, v29, v4, s6
	v_add_co_ci_u32_e64 v33, null, s17, v23, vcc_lo
	v_ashrrev_i32_e32 v23, 31, v22
	v_lshlrev_b64 v[28:29], 3, v[22:23]
	v_add_nc_u32_e32 v22, s6, v22
	v_add_co_u32 v58, vcc_lo, s16, v28
	v_add3_u32 v28, v14, v4, s6
	v_add_co_ci_u32_e64 v59, null, s17, v29, vcc_lo
	v_ashrrev_i32_e32 v29, 31, v28
	v_lshlrev_b64 v[68:69], 3, v[28:29]
	v_add_nc_u32_e32 v28, s6, v28
	v_add_co_u32 v68, vcc_lo, s16, v68
	v_add_co_ci_u32_e64 v69, null, s17, v69, vcc_lo
	s_clause 0x3
	global_load_dwordx2 v[23:24], v[24:25], off
	global_load_dwordx2 v[32:33], v[32:33], off
	;; [unrolled: 1-line block ×4, first 2 shown]
	buffer_load_dword v1, off, s[36:39], 0 offset:56 ; 4-byte Folded Reload
	v_ashrrev_i32_e32 v29, 31, v28
	v_lshlrev_b64 v[28:29], 3, v[28:29]
	s_waitcnt vmcnt(3)
	v_add_f64 v[74:75], v[23:24], -v[32:33]
	s_waitcnt vmcnt(2)
	v_add_f64 v[6:7], v[6:7], -v[58:59]
	;; [unrolled: 2-line block ×3, first 2 shown]
	s_waitcnt vmcnt(0)
	v_add_nc_u32_e32 v96, s7, v1
	v_add_f64 v[32:33], v[82:83], -v[32:33]
	v_add_f64 v[23:24], v[124:125], -v[23:24]
	v_ashrrev_i32_e32 v97, 31, v96
	v_lshlrev_b64 v[64:65], 3, v[96:97]
	v_add_co_u32 v64, vcc_lo, s22, v64
	v_add_co_ci_u32_e64 v65, null, s23, v65, vcc_lo
	v_fma_f64 v[6:7], v[6:7], s[4:5], -v[38:39]
	v_mul_f64 v[74:75], v[74:75], s[0:1]
	global_load_dwordx2 v[38:39], v[64:65], off
	s_clause 0x7
	buffer_load_dword v46, off, s[36:39], 0 offset:100
	buffer_load_dword v47, off, s[36:39], 0 offset:104
	;; [unrolled: 1-line block ×8, first 2 shown]
	v_fma_f64 v[74:75], v[80:81], s[4:5], -v[74:75]
	s_waitcnt vmcnt(6)
	v_mul_f64 v[38:39], v[46:47], v[38:39]
	s_waitcnt vmcnt(4)
	v_mul_f64 v[38:39], v[70:71], v[38:39]
	v_mul_f64 v[6:7], v[6:7], v[38:39]
	s_waitcnt vmcnt(0)
	v_mul_f64 v[38:39], v[4:5], v[10:11]
	s_clause 0x3
	buffer_load_dword v10, off, s[36:39], 0 offset:268
	buffer_load_dword v11, off, s[36:39], 0 offset:272
	buffer_load_dword v12, off, s[36:39], 0 offset:300
	buffer_load_dword v13, off, s[36:39], 0 offset:304
	v_mul_f64 v[86:87], v[38:39], v[54:55]
	v_mul_f64 v[25:26], v[86:87], v[26:27]
	s_waitcnt vmcnt(0)
	v_mul_f64 v[58:59], v[10:11], v[12:13]
	s_clause 0x3
	buffer_load_dword v12, off, s[36:39], 0 offset:276
	buffer_load_dword v13, off, s[36:39], 0 offset:280
	buffer_load_dword v18, off, s[36:39], 0 offset:316
	buffer_load_dword v19, off, s[36:39], 0 offset:320
	;; [unrolled: 9-line block ×3, first 2 shown]
	buffer_load_dword v1, off, s[36:39], 0 offset:36
	v_mul_f64 v[94:95], v[64:65], v[84:85]
	v_mul_f64 v[8:9], v[94:95], v[8:9]
	s_waitcnt vmcnt(1)
	v_mul_f64 v[80:81], v[18:19], v[72:73]
	v_mul_f64 v[121:122], v[80:81], v[106:107]
	;; [unrolled: 1-line block ×3, first 2 shown]
	v_mov_b32_e32 v72, v112
	v_mov_b32_e32 v74, v114
	;; [unrolled: 1-line block ×4, first 2 shown]
	v_mul_f64 v[80:81], v[74:75], v[6:7]
	v_add_f64 v[6:7], v[78:79], -v[110:111]
	s_waitcnt vmcnt(0)
	v_add_nc_u32_e32 v78, s7, v1
	buffer_load_dword v1, off, s[36:39], 0 offset:32 ; 4-byte Folded Reload
	v_mul_f64 v[64:65], v[72:73], v[38:39]
	v_mul_f64 v[48:49], v[72:73], v[25:26]
	;; [unrolled: 1-line block ×3, first 2 shown]
	v_ashrrev_i32_e32 v79, 31, v78
	v_lshlrev_b64 v[8:9], 3, v[78:79]
	v_mul_f64 v[38:39], v[72:73], v[58:59]
	v_add_co_u32 v8, vcc_lo, s22, v8
	v_add_co_ci_u32_e64 v9, null, s23, v9, vcc_lo
	v_mul_f64 v[6:7], v[6:7], s[0:1]
	v_fma_f64 v[6:7], v[32:33], s[4:5], -v[6:7]
	v_add_f64 v[32:33], v[99:100], -v[104:105]
	v_mul_f64 v[32:33], v[32:33], s[0:1]
	s_waitcnt vmcnt(0)
	v_add_nc_u32_e32 v58, s7, v1
	v_add_f64 v[1:2], v[2:3], -v[68:69]
	v_ashrrev_i32_e32 v59, 31, v58
	v_lshlrev_b64 v[74:75], 3, v[58:59]
	v_add_co_u32 v74, vcc_lo, s22, v74
	v_add_co_ci_u32_e64 v75, null, s23, v75, vcc_lo
	global_load_dwordx2 v[74:75], v[74:75], off
	s_clause 0x3
	buffer_load_dword v90, off, s[36:39], 0 offset:48
	buffer_load_dword v91, off, s[36:39], 0 offset:52
	;; [unrolled: 1-line block ×4, first 2 shown]
	global_load_dwordx2 v[8:9], v[8:9], off
	s_clause 0x8
	buffer_load_dword v88, off, s[36:39], 0 offset:40
	buffer_load_dword v89, off, s[36:39], 0 offset:44
	;; [unrolled: 1-line block ×9, first 2 shown]
	v_fma_f64 v[1:2], v[1:2], s[4:5], -v[32:33]
	v_add_nc_u32_e32 v32, s6, v101
	v_ashrrev_i32_e32 v33, 31, v32
	v_lshlrev_b64 v[32:33], 3, v[32:33]
	s_waitcnt vmcnt(12)
	v_mul_f64 v[74:75], v[90:91], v[74:75]
	s_waitcnt vmcnt(7)
	v_mul_f64 v[8:9], v[88:89], v[8:9]
	s_waitcnt vmcnt(0)
	v_add_nc_u32_e32 v68, s7, v3
	v_ashrrev_i32_e32 v69, 31, v68
	v_mul_f64 v[74:75], v[108:109], v[74:75]
	v_mul_f64 v[8:9], v[82:83], v[8:9]
	;; [unrolled: 1-line block ×3, first 2 shown]
	v_lshlrev_b64 v[74:75], 3, v[68:69]
	v_mul_f64 v[1:2], v[1:2], v[8:9]
	v_mul_f64 v[8:9], v[110:111], v[6:7]
	v_mul_f64 v[6:7], v[112:113], v[1:2]
	v_add_nc_u32_e32 v1, s6, v15
	v_add_f64 v[14:15], v[92:93], -v[102:103]
	v_ashrrev_i32_e32 v2, 31, v1
	v_lshlrev_b64 v[1:2], 3, v[1:2]
	v_add_co_u32 v1, vcc_lo, s16, v1
	v_add_co_ci_u32_e64 v2, null, s17, v2, vcc_lo
	v_add_co_u32 v32, vcc_lo, s16, v32
	v_add_co_ci_u32_e64 v33, null, s17, v33, vcc_lo
	v_mul_f64 v[14:15], v[14:15], s[0:1]
	v_add_co_u32 v74, vcc_lo, s22, v74
	v_add_co_ci_u32_e64 v75, null, s23, v75, vcc_lo
	v_fma_f64 v[14:15], v[23:24], s[4:5], -v[14:15]
	v_subrev_nc_u32_e32 v23, s6, v68
	global_load_dwordx2 v[68:69], v[74:75], off
	s_clause 0x3
	buffer_load_dword v74, off, s[36:39], 0 offset:116
	buffer_load_dword v75, off, s[36:39], 0 offset:120
	;; [unrolled: 1-line block ×4, first 2 shown]
	v_ashrrev_i32_e32 v24, 31, v23
	v_lshlrev_b64 v[23:24], 3, v[23:24]
	v_add_co_u32 v23, vcc_lo, s22, v23
	v_add_co_ci_u32_e64 v24, null, s23, v24, vcc_lo
	global_load_dwordx2 v[23:24], v[23:24], off
	s_clause 0x1
	buffer_load_dword v99, off, s[36:39], 0 offset:136
	buffer_load_dword v100, off, s[36:39], 0 offset:140
	s_waitcnt vmcnt(5)
	v_mul_f64 v[68:69], v[74:75], v[68:69]
	s_waitcnt vmcnt(2)
	v_mul_f64 v[23:24], v[74:75], v[23:24]
	v_mul_f64 v[68:69], v[92:93], v[68:69]
	v_add_nc_u32_e32 v74, s6, v0
	v_ashrrev_i32_e32 v75, 31, v74
	v_lshlrev_b64 v[74:75], 3, v[74:75]
	v_mul_f64 v[23:24], v[92:93], v[23:24]
	v_mul_f64 v[14:15], v[14:15], v[68:69]
	v_add_nc_u32_e32 v68, s6, v120
	v_ashrrev_i32_e32 v69, 31, v68
	v_lshlrev_b64 v[68:69], 3, v[68:69]
	v_add_co_u32 v68, vcc_lo, s16, v68
	v_add_co_ci_u32_e64 v69, null, s17, v69, vcc_lo
	v_add_co_u32 v74, vcc_lo, s16, v74
	v_add_co_ci_u32_e64 v75, null, s17, v75, vcc_lo
	s_waitcnt vmcnt(0)
	v_mul_f64 v[14:15], v[99:100], v[14:15]
	s_clause 0x3
	global_load_dwordx2 v[110:111], v[1:2], off
	global_load_dwordx2 v[103:104], v[32:33], off
	;; [unrolled: 1-line block ×4, first 2 shown]
	s_clause 0x1
	buffer_load_dword v68, off, s[36:39], 0 offset:252
	buffer_load_dword v69, off, s[36:39], 0 offset:256
	v_add_nc_u32_e32 v32, s6, v126
	v_ashrrev_i32_e32 v33, 31, v32
	v_lshlrev_b64 v[32:33], 3, v[32:33]
	s_waitcnt vmcnt(4)
	v_add_f64 v[0:1], v[110:111], -v[103:104]
	s_waitcnt vmcnt(2)
	v_add_f64 v[2:3], v[99:100], -v[92:93]
	s_waitcnt vmcnt(0)
	v_mul_f64 v[8:9], v[68:69], v[8:9]
	v_mul_f64 v[0:1], v[0:1], s[0:1]
	v_fma_f64 v[0:1], v[2:3], s[4:5], -v[0:1]
	v_mul_f64 v[2:3], v[68:69], v[14:15]
	v_fma_f64 v[14:15], v[0:1], v[23:24], v[2:3]
	v_subrev_nc_u32_e32 v0, s6, v58
	v_add_nc_u32_e32 v2, s6, v16
	v_add_nc_u32_e32 v16, s6, v17
	;; [unrolled: 1-line block ×3, first 2 shown]
	v_mul_f64 v[58:59], v[60:61], s[0:1]
	v_ashrrev_i32_e32 v1, 31, v0
	v_ashrrev_i32_e32 v3, 31, v2
	v_ashrrev_i32_e32 v17, 31, v16
	v_ashrrev_i32_e32 v24, 31, v23
	v_lshlrev_b64 v[0:1], 3, v[0:1]
	v_lshlrev_b64 v[2:3], 3, v[2:3]
	;; [unrolled: 1-line block ×4, first 2 shown]
	v_add_co_u32 v0, vcc_lo, s22, v0
	v_add_co_ci_u32_e64 v1, null, s23, v1, vcc_lo
	v_add_co_u32 v2, vcc_lo, s16, v2
	v_add_co_ci_u32_e64 v3, null, s17, v3, vcc_lo
	global_load_dwordx2 v[0:1], v[0:1], off
	v_add_co_u32 v16, vcc_lo, s16, v16
	v_add_co_ci_u32_e64 v17, null, s17, v17, vcc_lo
	v_add_co_u32 v23, vcc_lo, s16, v23
	v_add_co_ci_u32_e64 v24, null, s17, v24, vcc_lo
	;; [unrolled: 2-line block ×3, first 2 shown]
	v_fma_f64 v[40:41], v[40:41], s[4:5], -v[58:59]
	s_waitcnt vmcnt(0)
	v_mul_f64 v[0:1], v[90:91], v[0:1]
	v_mov_b32_e32 v91, v69
	v_mov_b32_e32 v90, v68
	v_mul_f64 v[0:1], v[108:109], v[0:1]
	s_clause 0x3
	global_load_dwordx2 v[114:115], v[2:3], off
	global_load_dwordx2 v[112:113], v[16:17], off
	;; [unrolled: 1-line block ×4, first 2 shown]
	s_waitcnt vmcnt(2)
	v_add_f64 v[2:3], v[114:115], -v[112:113]
	s_waitcnt vmcnt(0)
	v_add_f64 v[16:17], v[108:109], -v[101:102]
	v_mul_f64 v[2:3], v[2:3], s[0:1]
	v_fma_f64 v[2:3], v[16:17], s[4:5], -v[2:3]
	v_fma_f64 v[16:17], v[2:3], v[0:1], v[8:9]
	s_clause 0x5
	buffer_load_dword v74, off, s[36:39], 0 offset:244
	buffer_load_dword v75, off, s[36:39], 0 offset:248
	;; [unrolled: 1-line block ×6, first 2 shown]
	v_add_f64 v[14:15], v[14:15], -v[16:17]
	s_waitcnt vmcnt(0)
	v_fma_f64 v[68:69], v[74:75], v[2:3], v[0:1]
	s_clause 0x1
	buffer_load_dword v2, off, s[36:39], 0 offset:476
	buffer_load_dword v3, off, s[36:39], 0 offset:480
	v_mul_f64 v[0:1], v[50:51], s[0:1]
	s_waitcnt vmcnt(0)
	v_fma_f64 v[0:1], v[2:3], s[4:5], -v[0:1]
	s_clause 0x3
	buffer_load_dword v2, off, s[36:39], 0 offset:452
	buffer_load_dword v3, off, s[36:39], 0 offset:456
	;; [unrolled: 1-line block ×4, first 2 shown]
	v_mul_f64 v[50:51], v[86:87], v[0:1]
	v_subrev_nc_u32_e32 v0, s6, v96
	v_ashrrev_i32_e32 v1, 31, v0
	v_lshlrev_b64 v[0:1], 3, v[0:1]
	v_add_co_u32 v0, vcc_lo, s22, v0
	v_add_co_ci_u32_e64 v1, null, s23, v1, vcc_lo
	s_waitcnt vmcnt(2)
	v_mul_f64 v[2:3], v[2:3], s[0:1]
	s_waitcnt vmcnt(0)
	v_fma_f64 v[32:33], v[8:9], s[4:5], -v[2:3]
	s_clause 0x3
	buffer_load_dword v8, off, s[36:39], 0 offset:400
	buffer_load_dword v9, off, s[36:39], 0 offset:404
	buffer_load_dword v23, off, s[36:39], 0 offset:232
	buffer_load_dword v24, off, s[36:39], 0 offset:236
	v_add_f64 v[2:3], v[68:69], v[32:33]
	s_waitcnt vmcnt(2)
	v_fma_f64 v[8:9], v[74:75], v[8:9], v[50:51]
	s_waitcnt vmcnt(0)
	v_mul_f64 v[23:24], v[4:5], v[23:24]
	s_clause 0x1
	buffer_load_dword v4, off, s[36:39], 0 offset:424
	buffer_load_dword v5, off, s[36:39], 0 offset:428
	v_mul_f64 v[23:24], v[23:24], v[54:55]
	v_mul_f64 v[23:24], v[23:24], v[44:45]
	v_fma_f64 v[8:9], v[74:75], v[23:24], v[8:9]
	v_ashrrev_i32_e32 v23, 31, v22
	v_lshlrev_b64 v[22:23], 3, v[22:23]
	s_waitcnt vmcnt(0)
	v_mul_f64 v[32:33], v[4:5], s[0:1]
	s_clause 0x1
	buffer_load_dword v4, off, s[36:39], 0 offset:416
	buffer_load_dword v5, off, s[36:39], 0 offset:420
	s_waitcnt vmcnt(0)
	v_fma_f64 v[32:33], v[4:5], s[4:5], -v[32:33]
	s_clause 0x1
	buffer_load_dword v4, off, s[36:39], 0 offset:360
	buffer_load_dword v5, off, s[36:39], 0 offset:364
	v_mul_f64 v[32:33], v[97:98], v[32:33]
	s_waitcnt vmcnt(0)
	v_fma_f64 v[32:33], v[74:75], v[4:5], v[32:33]
	s_clause 0x1
	buffer_load_dword v4, off, s[36:39], 0 offset:224
	buffer_load_dword v5, off, s[36:39], 0 offset:228
	s_waitcnt vmcnt(0)
	v_mul_f64 v[44:45], v[10:11], v[4:5]
	s_clause 0x1
	buffer_load_dword v4, off, s[36:39], 0 offset:408
	buffer_load_dword v5, off, s[36:39], 0 offset:412
	v_mul_f64 v[44:45], v[44:45], v[52:53]
	v_mul_f64 v[40:41], v[44:45], v[40:41]
	v_fma_f64 v[24:25], v[74:75], v[40:41], v[32:33]
	v_add_f64 v[8:9], v[8:9], -v[24:25]
	v_subrev_nc_u32_e32 v24, s6, v78
	v_ashrrev_i32_e32 v25, 31, v24
	v_lshlrev_b64 v[24:25], 3, v[24:25]
	v_mul_f64 v[8:9], v[8:9], s[0:1]
	s_waitcnt vmcnt(0)
	v_mul_f64 v[50:51], v[4:5], s[0:1]
	s_clause 0x1
	buffer_load_dword v4, off, s[36:39], 0 offset:384
	buffer_load_dword v5, off, s[36:39], 0 offset:388
	s_waitcnt vmcnt(0)
	v_fma_f64 v[50:51], v[4:5], s[4:5], -v[50:51]
	s_clause 0x1
	buffer_load_dword v4, off, s[36:39], 0 offset:352
	buffer_load_dword v5, off, s[36:39], 0 offset:356
	v_mul_f64 v[50:51], v[94:95], v[50:51]
	s_waitcnt vmcnt(0)
	v_fma_f64 v[44:45], v[74:75], v[4:5], v[50:51]
	s_clause 0x1
	buffer_load_dword v4, off, s[36:39], 0 offset:216
	buffer_load_dword v5, off, s[36:39], 0 offset:220
	s_waitcnt vmcnt(0)
	v_mul_f64 v[50:51], v[12:13], v[4:5]
	s_clause 0x1
	buffer_load_dword v4, off, s[36:39], 0 offset:376
	buffer_load_dword v5, off, s[36:39], 0 offset:380
	v_add_nc_u32_e32 v12, s6, v30
	v_ashrrev_i32_e32 v13, 31, v12
	v_lshlrev_b64 v[12:13], 3, v[12:13]
	v_mul_f64 v[50:51], v[50:51], v[84:85]
	v_mul_f64 v[36:37], v[50:51], v[36:37]
	v_fma_f64 v[32:33], v[74:75], v[36:37], v[44:45]
	s_waitcnt vmcnt(0)
	v_mul_f64 v[58:59], v[4:5], s[0:1]
	s_clause 0x1
	buffer_load_dword v4, off, s[36:39], 0 offset:368
	buffer_load_dword v5, off, s[36:39], 0 offset:372
	s_waitcnt vmcnt(0)
	v_fma_f64 v[58:59], v[4:5], s[4:5], -v[58:59]
	s_clause 0x1
	buffer_load_dword v4, off, s[36:39], 0 offset:344
	buffer_load_dword v5, off, s[36:39], 0 offset:348
	v_mul_f64 v[56:57], v[121:122], v[58:59]
	v_mul_f64 v[58:59], v[42:43], s[0:1]
	v_fma_f64 v[42:43], v[66:67], s[4:5], -v[58:59]
	s_waitcnt vmcnt(0)
	v_fma_f64 v[50:51], v[74:75], v[4:5], v[56:57]
	s_clause 0x1
	buffer_load_dword v4, off, s[36:39], 0 offset:208
	buffer_load_dword v5, off, s[36:39], 0 offset:212
	s_waitcnt vmcnt(0)
	v_mul_f64 v[56:57], v[18:19], v[4:5]
	s_clause 0x3
	buffer_load_dword v4, off, s[36:39], 0 offset:192
	buffer_load_dword v5, off, s[36:39], 0 offset:196
	;; [unrolled: 1-line block ×4, first 2 shown]
	v_add_nc_u32_e32 v18, s6, v34
	v_ashrrev_i32_e32 v19, 31, v18
	v_lshlrev_b64 v[18:19], 3, v[18:19]
	v_mul_f64 v[56:57], v[56:57], v[106:107]
	v_mul_f64 v[42:43], v[56:57], v[42:43]
	v_add_nc_u32_e32 v56, s6, v123
	v_ashrrev_i32_e32 v57, 31, v56
	v_lshlrev_b64 v[56:57], 3, v[56:57]
	v_add_co_u32 v56, vcc_lo, s16, v56
	v_add_co_ci_u32_e64 v57, null, s17, v57, vcc_lo
	v_add_co_u32 v12, vcc_lo, s16, v12
	v_add_co_ci_u32_e64 v13, null, s17, v13, vcc_lo
	;; [unrolled: 2-line block ×4, first 2 shown]
	v_fma_f64 v[36:37], v[74:75], v[42:43], v[50:51]
	v_add_nc_u32_e32 v50, s6, v20
	v_add_nc_u32_e32 v20, s6, v21
	v_ashrrev_i32_e32 v51, 31, v50
	v_ashrrev_i32_e32 v21, 31, v20
	v_lshlrev_b64 v[50:51], 3, v[50:51]
	v_lshlrev_b64 v[20:21], 3, v[20:21]
	v_add_co_u32 v50, vcc_lo, s16, v50
	v_add_co_ci_u32_e64 v51, null, s17, v51, vcc_lo
	v_add_co_u32 v20, vcc_lo, s16, v20
	v_add_co_ci_u32_e64 v21, null, s17, v21, vcc_lo
	;; [unrolled: 2-line block ×4, first 2 shown]
	s_waitcnt vmcnt(0)
	v_mul_f64 v[58:59], v[4:5], v[10:11]
	v_mul_f64 v[54:55], v[58:59], v[54:55]
	s_clause 0x3
	buffer_load_dword v58, off, s[36:39], 0 offset:176
	buffer_load_dword v59, off, s[36:39], 0 offset:180
	;; [unrolled: 1-line block ×4, first 2 shown]
	s_clause 0x3
	global_load_dwordx2 v[56:57], v[56:57], off
	global_load_dwordx2 v[12:13], v[12:13], off
	global_load_dwordx2 v[62:63], v[62:63], off
	global_load_dwordx2 v[18:19], v[18:19], off
	s_waitcnt vmcnt(4)
	v_mul_f64 v[58:59], v[58:59], v[60:61]
	v_add_f64 v[60:61], v[110:111], -v[114:115]
	s_waitcnt vmcnt(2)
	v_add_f64 v[66:67], v[56:57], -v[12:13]
	v_mul_f64 v[52:53], v[58:59], v[52:53]
	v_mul_f64 v[60:61], v[60:61], s[0:1]
	v_add_f64 v[58:59], v[103:104], -v[112:113]
	v_fma_f64 v[60:61], v[66:67], s[4:5], -v[60:61]
	v_mul_f64 v[58:59], v[58:59], s[0:1]
	s_waitcnt vmcnt(0)
	v_add_f64 v[66:67], v[62:63], -v[18:19]
	v_mul_f64 v[40:41], v[54:55], v[60:61]
	v_mov_b32_e32 v60, v90
	v_fma_f64 v[58:59], v[66:67], s[4:5], -v[58:59]
	s_clause 0x5
	buffer_load_dword v66, off, s[36:39], 0 offset:160
	buffer_load_dword v67, off, s[36:39], 0 offset:164
	;; [unrolled: 1-line block ×6, first 2 shown]
	v_mov_b32_e32 v61, v91
	v_mul_f64 v[42:43], v[52:53], v[58:59]
	s_waitcnt vmcnt(2)
	v_mul_f64 v[66:67], v[66:67], v[68:69]
	s_waitcnt vmcnt(0)
	v_mul_f64 v[68:69], v[4:5], s[0:1]
	s_clause 0x5
	buffer_load_dword v4, off, s[36:39], 0 offset:332
	buffer_load_dword v5, off, s[36:39], 0 offset:336
	;; [unrolled: 1-line block ×6, first 2 shown]
	s_clause 0x1
	global_load_dwordx2 v[50:51], v[50:51], off
	global_load_dwordx2 v[20:21], v[20:21], off
	v_mul_f64 v[44:45], v[66:67], v[84:85]
	s_waitcnt vmcnt(6)
	v_fma_f64 v[68:69], v[4:5], s[4:5], -v[68:69]
	s_waitcnt vmcnt(2)
	v_mul_f64 v[52:53], v[52:53], v[54:55]
	v_add_f64 v[54:55], v[99:100], -v[108:109]
	s_waitcnt vmcnt(0)
	v_add_f64 v[58:59], v[50:51], -v[20:21]
	v_mul_f64 v[4:5], v[52:53], v[106:107]
	v_mul_f64 v[54:55], v[54:55], s[0:1]
	v_add_f64 v[52:53], v[92:93], -v[101:102]
	v_fma_f64 v[54:55], v[58:59], s[4:5], -v[54:55]
	s_clause 0x1
	global_load_dwordx2 v[58:59], v[22:23], off
	global_load_dwordx2 v[22:23], v[28:29], off
	v_mul_f64 v[28:29], v[52:53], s[0:1]
	s_waitcnt vmcnt(1)
	v_add_f64 v[34:35], v[50:51], -v[58:59]
	s_waitcnt vmcnt(0)
	v_add_f64 v[52:53], v[58:59], -v[22:23]
	v_fma_f64 v[28:29], v[52:53], s[4:5], -v[28:29]
	v_add_co_u32 v52, vcc_lo, s22, v24
	v_add_co_ci_u32_e64 v53, null, s23, v25, vcc_lo
	v_add_f64 v[24:25], v[68:69], v[2:3]
	v_add_f64 v[2:3], v[32:33], -v[36:37]
	v_fma_f64 v[32:33], v[60:61], v[48:49], v[40:41]
	v_fma_f64 v[36:37], v[60:61], v[64:65], v[42:43]
	v_mul_f64 v[40:41], v[44:45], v[54:55]
	v_mul_f64 v[4:5], v[4:5], v[28:29]
	v_fma_f64 v[28:29], v[2:3], s[4:5], -v[8:9]
	s_clause 0x3
	buffer_load_dword v2, off, s[36:39], 0 offset:468
	buffer_load_dword v3, off, s[36:39], 0 offset:472
	;; [unrolled: 1-line block ×4, first 2 shown]
	global_load_dwordx2 v[0:1], v[0:1], off
	v_fma_f64 v[10:11], v[60:61], v[26:27], v[40:41]
	v_mov_b32_e32 v40, v90
	v_mov_b32_e32 v41, v91
	v_mul_f64 v[6:7], v[40:41], v[6:7]
	v_fma_f64 v[26:27], v[60:61], v[38:39], v[4:5]
	v_add_f64 v[10:11], v[10:11], -v[26:27]
	s_waitcnt vmcnt(1)
	v_add_f64 v[30:31], v[2:3], -v[8:9]
	v_add_f64 v[8:9], v[32:33], -v[36:37]
	s_waitcnt vmcnt(0)
	v_mul_f64 v[32:33], v[46:47], v[0:1]
	s_clause 0x1
	buffer_load_dword v0, off, s[36:39], 0
	buffer_load_dword v1, off, s[36:39], 0 offset:4
	global_load_dwordx2 v[4:5], v[52:53], off
	v_add_f64 v[36:37], v[56:57], -v[62:63]
	v_add_f64 v[2:3], v[116:117], -v[76:77]
	v_mul_f64 v[8:9], v[8:9], s[0:1]
	v_mul_f64 v[32:33], v[70:71], v[32:33]
	s_waitcnt vmcnt(2)
	v_add_co_u32 v0, vcc_lo, s2, v0
	s_waitcnt vmcnt(0)
	v_mul_f64 v[38:39], v[88:89], v[4:5]
	v_add_f64 v[4:5], v[12:13], -v[18:19]
	v_add_f64 v[12:13], v[20:21], -v[22:23]
	v_mul_f64 v[20:21], v[36:37], s[0:1]
	v_mul_f64 v[22:23], v[30:31], s[0:1]
	;; [unrolled: 1-line block ×3, first 2 shown]
	v_add_co_ci_u32_e64 v1, null, s3, v1, vcc_lo
	global_load_dwordx2 v[18:19], v[0:1], off
	v_mul_f64 v[4:5], v[4:5], s[0:1]
	v_fma_f64 v[20:21], v[34:35], s[4:5], -v[20:21]
	v_mul_f64 v[34:35], v[82:83], v[38:39]
	v_fma_f64 v[2:3], v[2:3], s[4:5], -v[22:23]
	v_fma_f64 v[4:5], v[12:13], s[4:5], -v[4:5]
	v_add_f64 v[12:13], v[24:25], v[28:29]
	v_fma_f64 v[16:17], v[20:21], v[32:33], v[30:31]
	v_fma_f64 v[4:5], v[4:5], v[34:35], v[6:7]
	;; [unrolled: 1-line block ×3, first 2 shown]
	v_fma_f64 v[6:7], v[10:11], s[4:5], -v[8:9]
	v_mul_f64 v[8:9], v[14:15], s[0:1]
	v_add_f64 v[4:5], v[16:17], -v[4:5]
	v_add_f64 v[2:3], v[2:3], v[6:7]
	v_fma_f64 v[4:5], v[4:5], s[4:5], -v[8:9]
	v_add_f64 v[2:3], v[2:3], v[4:5]
	s_clause 0x5
	buffer_load_dword v4, off, s[36:39], 0 offset:8
	buffer_load_dword v5, off, s[36:39], 0 offset:12
	;; [unrolled: 1-line block ×6, first 2 shown]
	v_mul_f64 v[2:3], s[14:15], v[2:3]
	s_waitcnt vmcnt(0)
	v_div_fixup_f64 v[4:5], v[8:9], v[6:7], v[4:5]
	v_mul_f64 v[2:3], v[4:5], v[2:3]
	v_fma_f64 v[2:3], s[12:13], v[18:19], v[2:3]
	global_store_dwordx2 v[0:1], v[2:3], off
.LBB1_2:
	s_endpgm
	.section	.rodata,"a",@progbits
	.p2align	6, 0x0
	.amdhsa_kernel _Z7kernel2iiiiiiiiiiiiddPKdS0_S0_S0_S0_PdS0_S0_S0_S0_S0_S0_S0_
		.amdhsa_group_segment_fixed_size 0
		.amdhsa_private_segment_fixed_size 856
		.amdhsa_kernarg_size 424
		.amdhsa_user_sgpr_count 6
		.amdhsa_user_sgpr_private_segment_buffer 1
		.amdhsa_user_sgpr_dispatch_ptr 0
		.amdhsa_user_sgpr_queue_ptr 0
		.amdhsa_user_sgpr_kernarg_segment_ptr 1
		.amdhsa_user_sgpr_dispatch_id 0
		.amdhsa_user_sgpr_flat_scratch_init 0
		.amdhsa_user_sgpr_private_segment_size 0
		.amdhsa_wavefront_size32 1
		.amdhsa_uses_dynamic_stack 0
		.amdhsa_system_sgpr_private_segment_wavefront_offset 1
		.amdhsa_system_sgpr_workgroup_id_x 1
		.amdhsa_system_sgpr_workgroup_id_y 1
		.amdhsa_system_sgpr_workgroup_id_z 1
		.amdhsa_system_sgpr_workgroup_info 0
		.amdhsa_system_vgpr_workitem_id 2
		.amdhsa_next_free_vgpr 128
		.amdhsa_next_free_sgpr 40
		.amdhsa_reserve_vcc 1
		.amdhsa_reserve_flat_scratch 0
		.amdhsa_float_round_mode_32 0
		.amdhsa_float_round_mode_16_64 0
		.amdhsa_float_denorm_mode_32 3
		.amdhsa_float_denorm_mode_16_64 3
		.amdhsa_dx10_clamp 1
		.amdhsa_ieee_mode 1
		.amdhsa_fp16_overflow 0
		.amdhsa_workgroup_processor_mode 1
		.amdhsa_memory_ordered 1
		.amdhsa_forward_progress 1
		.amdhsa_shared_vgpr_count 0
		.amdhsa_exception_fp_ieee_invalid_op 0
		.amdhsa_exception_fp_denorm_src 0
		.amdhsa_exception_fp_ieee_div_zero 0
		.amdhsa_exception_fp_ieee_overflow 0
		.amdhsa_exception_fp_ieee_underflow 0
		.amdhsa_exception_fp_ieee_inexact 0
		.amdhsa_exception_int_div_zero 0
	.end_amdhsa_kernel
	.text
.Lfunc_end1:
	.size	_Z7kernel2iiiiiiiiiiiiddPKdS0_S0_S0_S0_PdS0_S0_S0_S0_S0_S0_S0_, .Lfunc_end1-_Z7kernel2iiiiiiiiiiiiddPKdS0_S0_S0_S0_PdS0_S0_S0_S0_S0_S0_S0_
                                        ; -- End function
	.set _Z7kernel2iiiiiiiiiiiiddPKdS0_S0_S0_S0_PdS0_S0_S0_S0_S0_S0_S0_.num_vgpr, 128
	.set _Z7kernel2iiiiiiiiiiiiddPKdS0_S0_S0_S0_PdS0_S0_S0_S0_S0_S0_S0_.num_agpr, 0
	.set _Z7kernel2iiiiiiiiiiiiddPKdS0_S0_S0_S0_PdS0_S0_S0_S0_S0_S0_S0_.numbered_sgpr, 40
	.set _Z7kernel2iiiiiiiiiiiiddPKdS0_S0_S0_S0_PdS0_S0_S0_S0_S0_S0_S0_.num_named_barrier, 0
	.set _Z7kernel2iiiiiiiiiiiiddPKdS0_S0_S0_S0_PdS0_S0_S0_S0_S0_S0_S0_.private_seg_size, 856
	.set _Z7kernel2iiiiiiiiiiiiddPKdS0_S0_S0_S0_PdS0_S0_S0_S0_S0_S0_S0_.uses_vcc, 1
	.set _Z7kernel2iiiiiiiiiiiiddPKdS0_S0_S0_S0_PdS0_S0_S0_S0_S0_S0_S0_.uses_flat_scratch, 0
	.set _Z7kernel2iiiiiiiiiiiiddPKdS0_S0_S0_S0_PdS0_S0_S0_S0_S0_S0_S0_.has_dyn_sized_stack, 0
	.set _Z7kernel2iiiiiiiiiiiiddPKdS0_S0_S0_S0_PdS0_S0_S0_S0_S0_S0_S0_.has_recursion, 0
	.set _Z7kernel2iiiiiiiiiiiiddPKdS0_S0_S0_S0_PdS0_S0_S0_S0_S0_S0_S0_.has_indirect_call, 0
	.section	.AMDGPU.csdata,"",@progbits
; Kernel info:
; codeLenInByte = 16000
; TotalNumSgprs: 42
; NumVgprs: 128
; ScratchSize: 856
; MemoryBound: 0
; FloatMode: 240
; IeeeMode: 1
; LDSByteSize: 0 bytes/workgroup (compile time only)
; SGPRBlocks: 0
; VGPRBlocks: 15
; NumSGPRsForWavesPerEU: 42
; NumVGPRsForWavesPerEU: 128
; Occupancy: 8
; WaveLimiterHint : 0
; COMPUTE_PGM_RSRC2:SCRATCH_EN: 1
; COMPUTE_PGM_RSRC2:USER_SGPR: 6
; COMPUTE_PGM_RSRC2:TRAP_HANDLER: 0
; COMPUTE_PGM_RSRC2:TGID_X_EN: 1
; COMPUTE_PGM_RSRC2:TGID_Y_EN: 1
; COMPUTE_PGM_RSRC2:TGID_Z_EN: 1
; COMPUTE_PGM_RSRC2:TIDIG_COMP_CNT: 2
	.text
	.protected	_Z7kernel3iiiiiiiiiiiiddPKdS0_S0_S0_S0_PdS0_S0_S0_S0_S0_S0_S0_ ; -- Begin function _Z7kernel3iiiiiiiiiiiiddPKdS0_S0_S0_S0_PdS0_S0_S0_S0_S0_S0_S0_
	.globl	_Z7kernel3iiiiiiiiiiiiddPKdS0_S0_S0_S0_PdS0_S0_S0_S0_S0_S0_S0_
	.p2align	8
	.type	_Z7kernel3iiiiiiiiiiiiddPKdS0_S0_S0_S0_PdS0_S0_S0_S0_S0_S0_S0_,@function
_Z7kernel3iiiiiiiiiiiiddPKdS0_S0_S0_S0_PdS0_S0_S0_S0_S0_S0_S0_: ; @_Z7kernel3iiiiiiiiiiiiddPKdS0_S0_S0_S0_PdS0_S0_S0_S0_S0_S0_S0_
; %bb.0:
	s_mov_b64 s[30:31], s[2:3]
	s_mov_b64 s[28:29], s[0:1]
	s_clause 0x1
	s_load_dwordx2 s[0:1], s[4:5], 0xb4
	s_load_dwordx8 s[20:27], s[4:5], 0x0
	s_add_u32 s28, s28, s9
	s_addc_u32 s29, s29, 0
	s_waitcnt lgkmcnt(0)
	s_and_b32 s2, s0, 0xffff
	s_lshr_b32 s0, s0, 16
	s_and_b32 s1, s1, 0xffff
	s_mul_i32 s6, s6, s2
	s_mul_i32 s7, s7, s0
	;; [unrolled: 1-line block ×3, first 2 shown]
	v_add3_u32 v81, s6, s20, v0
	v_add3_u32 v8, s7, s22, v1
	;; [unrolled: 1-line block ×3, first 2 shown]
	v_cmp_gt_i32_e32 vcc_lo, s21, v81
	v_cmp_gt_i32_e64 s0, s23, v8
	v_cmp_gt_i32_e64 s1, s25, v0
	s_and_b32 s0, vcc_lo, s0
	s_and_b32 s0, s0, s1
	s_and_saveexec_b32 s1, s0
	s_cbranch_execz .LBB2_2
; %bb.1:
	s_load_dwordx8 s[8:15], s[4:5], 0x20
	s_sub_i32 s0, s27, s26
	s_load_dwordx8 s[16:23], s[4:5], 0x40
	s_add_i32 s24, s0, 1
	s_not_b32 s0, s0
	v_mul_lo_u32 v6, v8, s24
	v_add_nc_u32_e32 v86, -1, v81
	v_add_nc_u32_e32 v74, 1, v81
	v_add_nc_u32_e32 v67, 2, v81
	s_waitcnt lgkmcnt(0)
	s_sub_i32 s1, s9, s8
	s_mul_i32 s0, s8, s0
	s_add_i32 s9, s1, 1
	s_mul_i32 s9, s9, s24
	s_mul_i32 s1, s9, s10
	v_mul_lo_u32 v64, v0, s9
	s_add_i32 s1, s26, s1
	v_add_nc_u32_e32 v0, -2, v0
	s_sub_i32 s25, s0, s1
	v_add_nc_u32_e32 v58, s25, v81
	v_mul_lo_u32 v0, v0, s9
	v_add_nc_u32_e32 v80, v6, v58
	v_add_nc_u32_e32 v1, v80, v64
	v_ashrrev_i32_e32 v2, 31, v1
	v_lshlrev_b64 v[40:41], 3, v[1:2]
	v_add_co_u32 v3, s0, s20, v40
	v_add_co_ci_u32_e64 v4, null, s21, v41, s0
	s_sub_i32 s0, s11, s10
	v_add_co_u32 v1, vcc_lo, s18, v40
	s_add_i32 s6, s0, 1
	v_add_co_ci_u32_e64 v2, null, s19, v41, vcc_lo
	s_mul_i32 s6, s6, s9
	global_load_dwordx2 v[78:79], v[1:2], off
	global_load_dwordx2 v[15:16], v[3:4], off
	s_sub_i32 s10, s25, s6
	v_add_nc_u32_e32 v1, s9, v0
	v_add_nc_u32_e32 v10, s10, v81
	;; [unrolled: 1-line block ×3, first 2 shown]
	buffer_store_dword v0, off, s[28:31], 0 offset:132 ; 4-byte Folded Spill
	s_lshl_b32 s11, s6, 1
	v_lshl_add_u32 v3, s9, 1, v1
	v_add_nc_u32_e32 v9, v6, v10
	buffer_store_dword v1, off, s[28:31], 0 offset:128 ; 4-byte Folded Spill
	v_add_nc_u32_e32 v4, v1, v80
	s_mul_i32 s7, s6, 3
	v_add_nc_u32_e32 v12, v3, v80
	v_add_nc_u32_e32 v71, v3, v9
	v_mov_b32_e32 v68, v3
	v_ashrrev_i32_e32 v3, 31, v2
	v_ashrrev_i32_e32 v5, 31, v4
	v_add_nc_u32_e32 v0, v0, v9
	v_add_nc_u32_e32 v39, v9, v64
	buffer_store_dword v68, off, s[28:31], 0 offset:368 ; 4-byte Folded Spill
	v_lshlrev_b64 v[2:3], 3, v[2:3]
	v_lshlrev_b64 v[4:5], 3, v[4:5]
	v_add_nc_u32_e32 v19, s11, v0
	v_add_nc_u32_e32 v1, v1, v9
	;; [unrolled: 1-line block ×3, first 2 shown]
	v_ashrrev_i32_e32 v13, 31, v12
	v_add_co_u32 v35, vcc_lo, s18, v2
	v_add_co_ci_u32_e64 v36, null, s19, v3, vcc_lo
	v_add_co_u32 v2, s0, s20, v2
	v_add_co_ci_u32_e64 v3, null, s21, v3, s0
	global_load_dwordx2 v[50:51], v[35:36], off
	v_add_co_u32 v37, s1, s18, v4
	v_add_co_ci_u32_e64 v38, null, s19, v5, s1
	v_add_nc_u32_e32 v29, s6, v19
	v_add_co_u32 v4, s2, s20, v4
	v_add_co_ci_u32_e64 v5, null, s21, v5, s2
	v_ashrrev_i32_e32 v30, 31, v29
	v_add_nc_u32_e32 v21, s11, v1
	v_ashrrev_i32_e32 v24, 31, v23
	v_ashrrev_i32_e32 v20, 31, v19
	v_lshlrev_b64 v[12:13], 3, v[12:13]
	v_lshlrev_b64 v[76:77], 3, v[29:30]
	v_ashrrev_i32_e32 v22, 31, v21
	v_add_nc_u32_e32 v31, s6, v21
	v_lshlrev_b64 v[52:53], 3, v[19:20]
	v_add_nc_u32_e32 v25, s11, v71
	v_add_co_u32 v19, vcc_lo, s18, v12
	v_lshlrev_b64 v[56:57], 3, v[21:22]
	v_lshlrev_b64 v[21:22], 3, v[23:24]
	v_add_co_ci_u32_e64 v20, null, s19, v13, vcc_lo
	v_ashrrev_i32_e32 v26, 31, v25
	v_add_nc_u32_e32 v33, s6, v25
	v_add_co_u32 v12, s0, s20, v12
	v_ashrrev_i32_e32 v32, 31, v31
	v_lshlrev_b64 v[54:55], 3, v[25:26]
	v_add_co_ci_u32_e64 v13, null, s21, v13, s0
	v_add_nc_u32_e32 v18, s6, v39
	v_lshlrev_b64 v[72:73], 3, v[31:32]
	v_ashrrev_i32_e32 v34, 31, v33
	v_add_nc_u32_e32 v92, s6, v1
	v_add_nc_u32_e32 v95, s6, v0
	;; [unrolled: 1-line block ×3, first 2 shown]
	s_load_dwordx4 s[0:3], s[4:5], 0x98
	v_lshlrev_b64 v[33:34], 3, v[33:34]
	v_ashrrev_i32_e32 v93, 31, v92
	v_ashrrev_i32_e32 v96, 31, v95
	;; [unrolled: 1-line block ×3, first 2 shown]
	s_waitcnt vmcnt(0)
	buffer_store_dword v50, off, s[28:31], 0 offset:8 ; 4-byte Folded Spill
	buffer_store_dword v51, off, s[28:31], 0 offset:12 ; 4-byte Folded Spill
	global_load_dwordx2 v[42:43], v[2:3], off
	v_add_co_u32 v2, vcc_lo, s22, v52
	v_add_co_ci_u32_e64 v3, null, s23, v53, vcc_lo
	v_lshlrev_b64 v[23:24], 3, v[27:28]
	v_lshlrev_b64 v[0:1], 3, v[95:96]
	s_waitcnt vmcnt(0)
	buffer_store_dword v42, off, s[28:31], 0 offset:576 ; 4-byte Folded Spill
	buffer_store_dword v43, off, s[28:31], 0 offset:580 ; 4-byte Folded Spill
	global_load_dwordx2 v[48:49], v[37:38], off
	v_mov_b32_e32 v37, v24
	v_mov_b32_e32 v36, v23
	s_waitcnt vmcnt(0)
	buffer_store_dword v48, off, s[28:31], 0 ; 4-byte Folded Spill
	buffer_store_dword v49, off, s[28:31], 0 offset:4 ; 4-byte Folded Spill
	global_load_dwordx2 v[29:30], v[4:5], off
	v_add_co_u32 v4, vcc_lo, s22, v56
	v_add_co_ci_u32_e64 v5, null, s23, v57, vcc_lo
	s_waitcnt vmcnt(0)
	buffer_store_dword v29, off, s[28:31], 0 offset:56 ; 4-byte Folded Spill
	buffer_store_dword v30, off, s[28:31], 0 offset:60 ; 4-byte Folded Spill
	;; [unrolled: 1-line block ×4, first 2 shown]
	v_add_co_u32 v21, vcc_lo, s22, v21
	v_add_co_ci_u32_e64 v22, null, s23, v22, vcc_lo
	v_mov_b32_e32 v26, v22
	v_mov_b32_e32 v25, v21
	buffer_store_dword v25, off, s[28:31], 0 offset:488 ; 4-byte Folded Spill
	buffer_store_dword v26, off, s[28:31], 0 offset:492 ; 4-byte Folded Spill
	global_load_dwordx2 v[44:45], v[19:20], off
	s_waitcnt vmcnt(0)
	buffer_store_dword v44, off, s[28:31], 0 offset:32 ; 4-byte Folded Spill
	buffer_store_dword v45, off, s[28:31], 0 offset:36 ; 4-byte Folded Spill
	global_load_dwordx2 v[31:32], v[12:13], off
	v_add_co_u32 v12, vcc_lo, s22, v54
	v_add_co_ci_u32_e64 v13, null, s23, v55, vcc_lo
	v_add_co_u32 v19, vcc_lo, s22, v76
	v_add_co_ci_u32_e64 v20, null, s23, v77, vcc_lo
	;; [unrolled: 2-line block ×4, first 2 shown]
	s_waitcnt vmcnt(0)
	buffer_store_dword v31, off, s[28:31], 0 offset:568 ; 4-byte Folded Spill
	buffer_store_dword v32, off, s[28:31], 0 offset:572 ; 4-byte Folded Spill
	buffer_store_dword v27, off, s[28:31], 0 offset:480 ; 4-byte Folded Spill
	buffer_store_dword v28, off, s[28:31], 0 offset:484 ; 4-byte Folded Spill
	buffer_store_dword v33, off, s[28:31], 0 offset:248 ; 4-byte Folded Spill
	buffer_store_dword v34, off, s[28:31], 0 offset:252 ; 4-byte Folded Spill
	s_clause 0x2
	global_load_dwordx2 v[99:100], v[2:3], off
	global_load_dwordx2 v[84:85], v[4:5], off
	;; [unrolled: 1-line block ×3, first 2 shown]
	v_add_f64 v[2:3], v[78:79], v[15:16]
	v_add_f64 v[4:5], v[50:51], v[42:43]
	v_fma_f64 v[50:51], v[78:79], 2.0, v[15:16]
	s_waitcnt vmcnt(0)
	buffer_store_dword v59, off, s[28:31], 0 offset:64 ; 4-byte Folded Spill
	buffer_store_dword v60, off, s[28:31], 0 offset:68 ; 4-byte Folded Spill
	v_add_co_u32 v23, vcc_lo, s22, v33
	v_add_co_ci_u32_e64 v24, null, s23, v34, vcc_lo
	s_clause 0x2
	global_load_dwordx2 v[112:113], v[19:20], off
	global_load_dwordx2 v[108:109], v[21:22], off
	;; [unrolled: 1-line block ×3, first 2 shown]
	buffer_store_dword v2, off, s[28:31], 0 offset:296 ; 4-byte Folded Spill
	buffer_store_dword v3, off, s[28:31], 0 offset:300 ; 4-byte Folded Spill
	global_load_dwordx4 v[11:14], v[27:28], off
	v_lshlrev_b64 v[22:23], 3, v[92:93]
	s_waitcnt vmcnt(0)
	buffer_store_dword v11, off, s[28:31], 0 offset:72 ; 4-byte Folded Spill
	buffer_store_dword v12, off, s[28:31], 0 offset:76 ; 4-byte Folded Spill
	;; [unrolled: 1-line block ×4, first 2 shown]
	v_mul_f64 v[2:3], v[2:3], v[11:12]
	global_load_dwordx4 v[11:14], v[25:26], off
	s_waitcnt vmcnt(0)
	buffer_store_dword v11, off, s[28:31], 0 offset:552 ; 4-byte Folded Spill
	buffer_store_dword v12, off, s[28:31], 0 offset:556 ; 4-byte Folded Spill
	;; [unrolled: 1-line block ×4, first 2 shown]
	v_mul_f64 v[46:47], v[2:3], v[11:12]
	v_add_f64 v[2:3], v[44:45], v[31:32]
	v_add_f64 v[11:12], v[48:49], v[29:30]
	buffer_store_dword v2, off, s[28:31], 0 offset:544 ; 4-byte Folded Spill
	buffer_store_dword v3, off, s[28:31], 0 offset:548 ; 4-byte Folded Spill
	;; [unrolled: 1-line block ×6, first 2 shown]
	v_mul_f64 v[19:20], v[2:3], v[59:60]
	v_mul_f64 v[2:3], v[4:5], v[99:100]
	;; [unrolled: 1-line block ×3, first 2 shown]
	buffer_store_dword v19, off, s[28:31], 0 offset:144 ; 4-byte Folded Spill
	buffer_store_dword v20, off, s[28:31], 0 offset:148 ; 4-byte Folded Spill
	;; [unrolled: 1-line block ×4, first 2 shown]
	v_fma_f64 v[4:5], v[12:13], v[108:109], v[46:47]
	v_mul_f64 v[69:70], v[12:13], v[108:109]
	v_mul_f64 v[118:119], v[19:20], v[34:35]
	v_fma_f64 v[19:20], v[2:3], v[112:113], v[118:119]
	v_fma_f64 v[2:3], v[2:3], v[112:113], v[46:47]
	;; [unrolled: 1-line block ×3, first 2 shown]
	v_ashrrev_i32_e32 v19, 31, v18
	v_fma_f64 v[2:3], 0xbfe80000, v[2:3], v[69:70]
	v_lshlrev_b64 v[4:5], 3, v[18:19]
	v_add_co_u32 v18, vcc_lo, s16, v4
	v_add_co_ci_u32_e64 v19, null, s17, v5, vcc_lo
	v_add_co_u32 v22, vcc_lo, s16, v22
	v_add_co_ci_u32_e64 v23, null, s17, v23, vcc_lo
	buffer_store_dword v22, off, s[28:31], 0 offset:320 ; 4-byte Folded Spill
	buffer_store_dword v23, off, s[28:31], 0 offset:324 ; 4-byte Folded Spill
	s_clause 0x1
	global_load_dwordx2 v[24:25], v[18:19], off
	global_load_dwordx4 v[26:29], v[22:23], off
	s_waitcnt vmcnt(0)
	buffer_store_dword v26, off, s[28:31], 0 offset:504 ; 4-byte Folded Spill
	buffer_store_dword v27, off, s[28:31], 0 offset:508 ; 4-byte Folded Spill
	;; [unrolled: 1-line block ×6, first 2 shown]
	v_add_f64 v[18:19], v[26:27], -v[24:25]
	v_add_co_u32 v0, vcc_lo, s16, v0
	v_add_co_ci_u32_e64 v1, null, s17, v1, vcc_lo
	buffer_store_dword v0, off, s[28:31], 0 offset:288 ; 4-byte Folded Spill
	buffer_store_dword v1, off, s[28:31], 0 offset:292 ; 4-byte Folded Spill
	v_mul_f64 v[18:19], v[20:21], v[18:19]
	global_load_dwordx4 v[11:14], v[0:1], off
	s_waitcnt vmcnt(0)
	buffer_store_dword v11, off, s[28:31], 0 offset:528 ; 4-byte Folded Spill
	buffer_store_dword v12, off, s[28:31], 0 offset:532 ; 4-byte Folded Spill
	;; [unrolled: 1-line block ×4, first 2 shown]
	v_add_f64 v[12:13], v[11:12], -v[24:25]
	v_fma_f64 v[0:1], v[2:3], v[12:13], v[18:19]
	v_subrev_nc_u32_e32 v2, s26, v81
	buffer_store_dword v0, off, s[28:31], 0 offset:176 ; 4-byte Folded Spill
	buffer_store_dword v1, off, s[28:31], 0 offset:180 ; 4-byte Folded Spill
	v_ashrrev_i32_e32 v3, 31, v2
	v_add_nc_u32_e32 v0, -2, v81
	v_add3_u32 v18, v64, v6, s25
	v_ashrrev_i32_e32 v1, 31, v6
	v_lshlrev_b64 v[2:3], 3, v[2:3]
	buffer_store_dword v0, off, s[28:31], 0 offset:280 ; 4-byte Folded Spill
	v_add_nc_u32_e32 v12, v18, v86
	v_add_nc_u32_e32 v20, v18, v74
	s_waitcnt lgkmcnt(0)
	v_add_co_u32 v93, vcc_lo, s0, v2
	v_add_nc_u32_e32 v2, v18, v0
	v_add_co_ci_u32_e64 v94, null, s1, v3, vcc_lo
	v_ashrrev_i32_e32 v13, 31, v12
	v_ashrrev_i32_e32 v21, 31, v20
	;; [unrolled: 1-line block ×3, first 2 shown]
	s_ashr_i32 s1, s10, 31
	v_lshlrev_b64 v[12:13], 3, v[12:13]
	v_lshlrev_b64 v[20:21], 3, v[20:21]
	;; [unrolled: 1-line block ×3, first 2 shown]
	v_add_co_u32 v2, vcc_lo, s18, v2
	v_add_co_ci_u32_e64 v3, null, s19, v3, vcc_lo
	v_add_co_u32 v12, vcc_lo, s18, v12
	v_add_co_ci_u32_e64 v13, null, s19, v13, vcc_lo
	;; [unrolled: 2-line block ×3, first 2 shown]
	v_add_co_u32 v0, vcc_lo, v81, s10
	v_add_co_u32 v0, s0, v0, v6
	v_ashrrev_i32_e32 v6, 31, v81
	v_add_co_ci_u32_e64 v6, null, s1, v6, vcc_lo
	v_add_co_u32 v0, vcc_lo, v0, v64
	v_add_co_ci_u32_e64 v1, null, v6, v1, s0
	v_ashrrev_i32_e32 v6, 31, v64
	s_ashr_i32 s0, s6, 31
	v_add_co_ci_u32_e64 v1, null, v1, v6, vcc_lo
	v_add_co_u32 v6, vcc_lo, v0, s6
	v_ashrrev_i32_e32 v0, 31, v39
	v_add_co_ci_u32_e64 v7, null, s0, v1, vcc_lo
	s_ashr_i32 s0, s11, 31
	v_lshlrev_b64 v[6:7], 3, v[6:7]
	v_add_co_u32 v6, vcc_lo, s22, v6
	v_add_co_ci_u32_e64 v7, null, s23, v7, vcc_lo
	v_add_co_u32 v4, vcc_lo, s22, v4
	v_add_co_ci_u32_e64 v5, null, s23, v5, vcc_lo
	;; [unrolled: 2-line block ×3, first 2 shown]
	global_load_dwordx2 v[0:1], v[12:13], off
	s_waitcnt vmcnt(0)
	buffer_store_dword v0, off, s[28:31], 0 offset:380 ; 4-byte Folded Spill
	buffer_store_dword v1, off, s[28:31], 0 offset:384 ; 4-byte Folded Spill
	global_load_dwordx2 v[2:3], v[2:3], off
	v_lshlrev_b64 v[22:23], 3, v[22:23]
	s_waitcnt vmcnt(0)
	buffer_store_dword v2, off, s[28:31], 0 offset:456 ; 4-byte Folded Spill
	buffer_store_dword v3, off, s[28:31], 0 offset:460 ; 4-byte Folded Spill
	global_load_dwordx2 v[19:20], v[20:21], off
	v_add_co_u32 v26, vcc_lo, s16, v22
	v_add_co_ci_u32_e64 v27, null, s17, v23, vcc_lo
	s_waitcnt vmcnt(0)
	buffer_store_dword v19, off, s[28:31], 0 offset:584 ; 4-byte Folded Spill
	buffer_store_dword v20, off, s[28:31], 0 offset:588 ; 4-byte Folded Spill
	global_load_dwordx4 v[11:14], v[6:7], off offset:-16
	s_waitcnt vmcnt(0)
	buffer_store_dword v11, off, s[28:31], 0 offset:464 ; 4-byte Folded Spill
	buffer_store_dword v12, off, s[28:31], 0 offset:468 ; 4-byte Folded Spill
	;; [unrolled: 1-line block ×4, first 2 shown]
	global_load_dwordx4 v[87:90], v[4:5], off
	global_load_dwordx4 v[60:63], v[93:94], off
	v_mul_f64 v[2:3], v[2:3], v[11:12]
	s_waitcnt vmcnt(1)
	v_mul_f64 v[6:7], v[19:20], v[89:90]
	v_mul_f64 v[28:29], v[11:12], v[2:3]
	;; [unrolled: 1-line block ×6, first 2 shown]
	v_mov_b32_e32 v31, v7
	v_mov_b32_e32 v30, v6
	buffer_store_dword v30, off, s[28:31], 0 offset:632 ; 4-byte Folded Spill
	buffer_store_dword v31, off, s[28:31], 0 offset:636 ; 4-byte Folded Spill
	global_load_dwordx4 v[19:22], v[93:94], off offset:-16
	s_waitcnt vmcnt(1)
	v_mul_f64 v[110:111], v[62:63], v[6:7]
	s_waitcnt vmcnt(0)
	buffer_store_dword v19, off, s[28:31], 0 offset:408 ; 4-byte Folded Spill
	buffer_store_dword v20, off, s[28:31], 0 offset:412 ; 4-byte Folded Spill
	;; [unrolled: 1-line block ×10, first 2 shown]
	v_mul_f64 v[2:3], v[87:88], v[2:3]
	v_mul_f64 v[12:13], v[60:61], v[2:3]
	v_fma_f64 v[2:3], v[19:20], v[28:29], v[110:111]
	v_fma_f64 v[6:7], v[21:22], v[0:1], v[12:13]
	v_add_co_u32 v82, vcc_lo, s16, v36
	v_add_co_ci_u32_e64 v83, null, s17, v37, vcc_lo
	global_load_dwordx4 v[42:45], v[82:83], off offset:-8
	v_fma_f64 v[2:3], 0x40080000, v[6:7], v[2:3]
	s_waitcnt vmcnt(0)
	v_add_f64 v[6:7], v[42:43], -v[44:45]
	v_mul_f64 v[42:43], v[21:22], v[0:1]
	v_add_nc_u32_e32 v0, -2, v8
	v_mul_lo_u32 v75, v0, s24
	v_add_nc_u32_e32 v98, s24, v75
	v_lshl_add_u32 v38, s24, 1, v98
	v_add3_u32 v104, v64, v98, v58
	v_mul_f64 v[2:3], v[2:3], v[6:7]
	global_load_dwordx2 v[6:7], v[26:27], off offset:-16
	v_fma_f64 v[26:27], v[19:20], v[28:29], v[12:13]
	v_add3_u32 v126, v64, v38, v58
	v_ashrrev_i32_e32 v105, 31, v104
	v_ashrrev_i32_e32 v127, 31, v126
	v_lshlrev_b64 v[104:105], 3, v[104:105]
	v_lshlrev_b64 v[126:127], 3, v[126:127]
	v_fma_f64 v[26:27], 0xbfe80000, v[26:27], v[42:43]
	s_waitcnt vmcnt(0)
	v_add_f64 v[6:7], v[6:7], -v[44:45]
	v_fma_f64 v[96:97], v[26:27], v[6:7], v[2:3]
	v_subrev_nc_u32_e32 v2, s8, v8
	v_add_nc_u32_e32 v6, v75, v10
	v_ashrrev_i32_e32 v3, 31, v2
	buffer_store_dword v6, off, s[28:31], 0 offset:392 ; 4-byte Folded Spill
	v_add_nc_u32_e32 v6, v6, v64
	v_lshlrev_b64 v[2:3], 3, v[2:3]
	v_add_nc_u32_e32 v106, s6, v6
	v_mov_b32_e32 v11, v6
	v_add_nc_u32_e32 v6, v98, v10
	v_add_co_u32 v26, vcc_lo, s2, v2
	v_add3_u32 v2, v64, v75, v58
	v_add_co_ci_u32_e64 v27, null, s3, v3, vcc_lo
	buffer_store_dword v6, off, s[28:31], 0 offset:388 ; 4-byte Folded Spill
	v_add_nc_u32_e32 v6, v6, v64
	v_ashrrev_i32_e32 v3, 31, v2
	buffer_store_dword v11, off, s[28:31], 0 offset:224 ; 4-byte Folded Spill
	v_ashrrev_i32_e32 v107, 31, v106
	s_load_dwordx4 s[0:3], s[4:5], 0x60
	v_add_nc_u32_e32 v122, s6, v6
	v_lshlrev_b64 v[2:3], 3, v[2:3]
	v_mov_b32_e32 v8, v6
	v_add_nc_u32_e32 v6, v38, v10
	v_lshlrev_b64 v[106:107], 3, v[106:107]
	v_ashrrev_i32_e32 v123, 31, v122
	s_mov_b32 s5, 0x3fe55555
	v_add_co_u32 v102, vcc_lo, s18, v2
	v_add_co_ci_u32_e64 v103, null, s19, v3, vcc_lo
	v_add_co_u32 v2, vcc_lo, s20, v2
	buffer_store_dword v6, off, s[28:31], 0 offset:396 ; 4-byte Folded Spill
	v_add_nc_u32_e32 v6, v6, v64
	v_add_co_ci_u32_e64 v3, null, s21, v3, vcc_lo
	buffer_store_dword v8, off, s[28:31], 0 offset:172 ; 4-byte Folded Spill
	v_add_co_u32 v116, vcc_lo, s18, v104
	buffer_store_dword v6, off, s[28:31], 0 offset:160 ; 4-byte Folded Spill
	global_load_dwordx2 v[102:103], v[102:103], off
	global_load_dwordx2 v[21:22], v[2:3], off
	v_add_co_ci_u32_e64 v117, null, s19, v105, vcc_lo
	v_add_co_u32 v104, vcc_lo, s20, v104
	v_add_co_ci_u32_e64 v105, null, s21, v105, vcc_lo
	v_add_nc_u32_e32 v124, s6, v6
	v_add_co_u32 v0, vcc_lo, s18, v126
	v_add_co_ci_u32_e64 v1, null, s19, v127, vcc_lo
	v_add_co_u32 v126, vcc_lo, s20, v126
	v_add_co_ci_u32_e64 v127, null, s21, v127, vcc_lo
	v_ashrrev_i32_e32 v125, 31, v124
	v_lshlrev_b64 v[122:123], 3, v[122:123]
	v_add_co_u32 v106, vcc_lo, s22, v106
	v_add_co_ci_u32_e64 v107, null, s23, v107, vcc_lo
	v_lshlrev_b64 v[48:49], 3, v[124:125]
	v_add_co_u32 v122, vcc_lo, s22, v122
	v_add_co_ci_u32_e64 v123, null, s23, v123, vcc_lo
	s_waitcnt vmcnt(0)
	buffer_store_dword v21, off, s[28:31], 0 offset:40 ; 4-byte Folded Spill
	buffer_store_dword v22, off, s[28:31], 0 offset:44 ; 4-byte Folded Spill
	global_load_dwordx2 v[2:3], v[116:117], off
	global_load_dwordx2 v[6:7], v[104:105], off
	v_add_co_u32 v48, vcc_lo, s22, v48
	v_add_co_ci_u32_e64 v49, null, s23, v49, vcc_lo
	s_waitcnt vmcnt(0)
	buffer_store_dword v6, off, s[28:31], 0 offset:16 ; 4-byte Folded Spill
	buffer_store_dword v7, off, s[28:31], 0 offset:20 ; 4-byte Folded Spill
	global_load_dwordx2 v[0:1], v[0:1], off
	global_load_dwordx2 v[19:20], v[126:127], off
	v_fma_f64 v[32:33], v[102:103], 2.0, v[21:22]
	s_waitcnt vmcnt(0)
	buffer_store_dword v19, off, s[28:31], 0 offset:24 ; 4-byte Folded Spill
	buffer_store_dword v20, off, s[28:31], 0 offset:28 ; 4-byte Folded Spill
	s_clause 0x2
	global_load_dwordx2 v[120:121], v[106:107], off
	global_load_dwordx2 v[65:66], v[122:123], off
	;; [unrolled: 1-line block ×3, first 2 shown]
	v_fma_f64 v[21:22], v[2:3], 2.0, v[6:7]
	buffer_store_dword v32, off, s[28:31], 0 offset:184 ; 4-byte Folded Spill
	buffer_store_dword v33, off, s[28:31], 0 offset:188 ; 4-byte Folded Spill
	;; [unrolled: 1-line block ×4, first 2 shown]
	v_fma_f64 v[0:1], v[0:1], 2.0, v[19:20]
	buffer_store_dword v0, off, s[28:31], 0 offset:164 ; 4-byte Folded Spill
	buffer_store_dword v1, off, s[28:31], 0 offset:168 ; 4-byte Folded Spill
	s_waitcnt vmcnt(0)
	buffer_store_dword v28, off, s[28:31], 0 offset:48 ; 4-byte Folded Spill
	buffer_store_dword v29, off, s[28:31], 0 offset:52 ; 4-byte Folded Spill
	;; [unrolled: 1-line block ×6, first 2 shown]
	v_mul_f64 v[15:16], v[21:22], v[65:66]
	v_mul_f64 v[2:3], v[32:33], v[120:121]
	global_load_dwordx4 v[19:22], v[26:27], off offset:-16
	v_mul_f64 v[15:16], v[65:66], v[15:16]
	v_mul_f64 v[2:3], v[120:121], v[2:3]
	;; [unrolled: 1-line block ×5, first 2 shown]
	global_load_dwordx4 v[101:104], v[26:27], off
	v_mul_f64 v[48:49], v[28:29], v[48:49]
	s_waitcnt vmcnt(0)
	v_mul_f64 v[106:107], v[101:102], v[106:107]
	v_mul_f64 v[125:126], v[103:104], v[48:49]
	v_fma_f64 v[122:123], v[21:22], v[15:16], v[106:107]
	v_fma_f64 v[116:117], v[19:20], v[2:3], v[125:126]
	buffer_store_dword v19, off, s[28:31], 0 offset:192 ; 4-byte Folded Spill
	buffer_store_dword v20, off, s[28:31], 0 offset:196 ; 4-byte Folded Spill
	;; [unrolled: 1-line block ×4, first 2 shown]
	v_fma_f64 v[116:117], 0x40080000, v[122:123], v[116:117]
	v_add_nc_u32_e32 v122, s11, v8
	v_add_nc_u32_e32 v8, s24, v38
	v_ashrrev_i32_e32 v123, 31, v122
	v_lshlrev_b64 v[0:1], 3, v[122:123]
	buffer_store_dword v0, off, s[28:31], 0 offset:120 ; 4-byte Folded Spill
	buffer_store_dword v1, off, s[28:31], 0 offset:124 ; 4-byte Folded Spill
	v_fma_f64 v[2:3], v[19:20], v[2:3], v[106:107]
	v_add_co_u32 v122, vcc_lo, s16, v0
	v_add_co_ci_u32_e64 v123, null, s17, v1, vcc_lo
	global_load_dwordx2 v[122:123], v[122:123], off
	s_waitcnt vmcnt(0)
	v_add_f64 v[122:123], v[122:123], -v[44:45]
	v_mul_f64 v[116:117], v[116:117], v[122:123]
	v_add_nc_u32_e32 v122, s11, v11
	v_add_nc_u32_e32 v11, v8, v10
	v_ashrrev_i32_e32 v123, 31, v122
	v_add_nc_u32_e32 v10, v11, v64
	v_mov_b32_e32 v105, v11
	v_lshlrev_b64 v[0:1], 3, v[122:123]
	buffer_store_dword v0, off, s[28:31], 0 offset:216 ; 4-byte Folded Spill
	buffer_store_dword v1, off, s[28:31], 0 offset:220 ; 4-byte Folded Spill
	v_add_co_u32 v122, vcc_lo, s16, v0
	v_add_co_ci_u32_e64 v123, null, s17, v1, vcc_lo
	v_mul_f64 v[0:1], v[21:22], v[15:16]
	global_load_dwordx2 v[122:123], v[122:123], off
	v_fma_f64 v[2:3], 0xbfe80000, v[2:3], v[0:1]
	s_waitcnt vmcnt(0)
	v_add_f64 v[15:16], v[122:123], -v[44:45]
	v_fma_f64 v[6:7], v[2:3], v[15:16], v[116:117]
	v_add_nc_u32_e32 v2, v18, v67
	v_ashrrev_i32_e32 v3, 31, v2
	v_lshlrev_b64 v[2:3], 3, v[2:3]
	v_add_co_u32 v2, vcc_lo, s18, v2
	v_add_co_ci_u32_e64 v3, null, s19, v3, vcc_lo
	global_load_dwordx2 v[2:3], v[2:3], off
	s_waitcnt vmcnt(0)
	buffer_store_dword v2, off, s[28:31], 0 offset:608 ; 4-byte Folded Spill
	buffer_store_dword v3, off, s[28:31], 0 offset:612 ; 4-byte Folded Spill
	global_load_dwordx2 v[14:15], v[4:5], off offset:16
	s_waitcnt vmcnt(0)
	buffer_store_dword v14, off, s[28:31], 0 offset:592 ; 4-byte Folded Spill
	buffer_store_dword v15, off, s[28:31], 0 offset:596 ; 4-byte Folded Spill
	global_load_dwordx2 v[4:5], v[93:94], off offset:16
	v_mul_f64 v[2:3], v[2:3], v[14:15]
	s_waitcnt vmcnt(0)
	v_mov_b32_e32 v23, v5
	v_mov_b32_e32 v22, v4
	buffer_store_dword v22, off, s[28:31], 0 offset:624 ; 4-byte Folded Spill
	buffer_store_dword v23, off, s[28:31], 0 offset:628 ; 4-byte Folded Spill
	;; [unrolled: 1-line block ×3, first 2 shown]
	v_mul_f64 v[122:123], v[14:15], v[2:3]
	v_fma_f64 v[2:3], v[4:5], v[122:123], v[42:43]
	v_fma_f64 v[4:5], v[62:63], v[30:31], v[12:13]
	;; [unrolled: 1-line block ×3, first 2 shown]
	global_load_dwordx4 v[2:5], v[82:83], off offset:8
	v_add_nc_u32_e32 v82, s6, v10
	v_ashrrev_i32_e32 v83, 31, v82
	v_fma_f64 v[12:13], v[22:23], v[122:123], v[12:13]
	v_fma_f64 v[12:13], 0xbfe80000, v[12:13], v[110:111]
	s_waitcnt vmcnt(0)
	v_add_f64 v[2:3], v[2:3], -v[44:45]
	v_add_f64 v[4:5], v[4:5], -v[44:45]
	v_fma_f64 v[2:3], v[42:43], v[2:3], v[96:97]
	v_add3_u32 v42, v64, v8, v58
	v_lshlrev_b64 v[96:97], 3, v[82:83]
	v_ashrrev_i32_e32 v43, 31, v42
	v_lshlrev_b64 v[42:43], 3, v[42:43]
	v_add_co_u32 v58, vcc_lo, s18, v42
	v_add_co_ci_u32_e64 v59, null, s19, v43, vcc_lo
	v_add_co_u32 v42, vcc_lo, s20, v42
	v_add_co_ci_u32_e64 v43, null, s21, v43, vcc_lo
	v_add_co_u32 v96, vcc_lo, s22, v96
	v_add_co_ci_u32_e64 v97, null, s23, v97, vcc_lo
	global_load_dwordx2 v[58:59], v[58:59], off
	global_load_dwordx2 v[30:31], v[42:43], off
	global_load_dwordx2 v[20:21], v[96:97], off
	global_load_dwordx2 v[10:11], v[26:27], off offset:16
	v_fma_f64 v[42:43], v[103:104], v[48:49], v[106:107]
	v_fma_f64 v[114:115], v[12:13], v[4:5], v[2:3]
	v_add_nc_u32_e32 v4, s6, v82
	v_add_nc_u32_e32 v97, s9, v68
	v_ashrrev_i32_e32 v5, 31, v4
	v_lshlrev_b64 v[4:5], 3, v[4:5]
	s_waitcnt vmcnt(2)
	v_fma_f64 v[18:19], v[58:59], 2.0, v[30:31]
	buffer_store_dword v18, off, s[28:31], 0 offset:236 ; 4-byte Folded Spill
	buffer_store_dword v19, off, s[28:31], 0 offset:240 ; 4-byte Folded Spill
	;; [unrolled: 1-line block ×4, first 2 shown]
	s_waitcnt vmcnt(1)
	v_mul_f64 v[26:27], v[18:19], v[20:21]
	v_mul_f64 v[18:19], v[60:61], v[101:102]
	;; [unrolled: 1-line block ×3, first 2 shown]
	s_waitcnt vmcnt(0)
	v_fma_f64 v[0:1], v[10:11], v[26:27], v[0:1]
	buffer_store_dword v10, off, s[28:31], 0 offset:256 ; 4-byte Folded Spill
	buffer_store_dword v11, off, s[28:31], 0 offset:260 ; 4-byte Folded Spill
	v_fma_f64 v[0:1], 0x40080000, v[42:43], v[0:1]
	v_add_nc_u32_e32 v42, s6, v124
	v_ashrrev_i32_e32 v43, 31, v42
	v_lshlrev_b64 v[14:15], 3, v[42:43]
	buffer_store_dword v14, off, s[28:31], 0 offset:136 ; 4-byte Folded Spill
	buffer_store_dword v15, off, s[28:31], 0 offset:140 ; 4-byte Folded Spill
	v_fma_f64 v[2:3], v[10:11], v[26:27], v[106:107]
	v_fma_f64 v[2:3], 0xbfe80000, v[2:3], v[125:126]
	v_add_co_u32 v42, vcc_lo, s16, v14
	v_add_co_ci_u32_e64 v43, null, s17, v15, vcc_lo
	global_load_dwordx2 v[42:43], v[42:43], off
	s_waitcnt vmcnt(0)
	v_add_f64 v[42:43], v[42:43], -v[44:45]
	v_fma_f64 v[0:1], v[0:1], v[42:43], v[6:7]
	s_waitcnt lgkmcnt(0)
	v_add_co_u32 v6, vcc_lo, s0, v40
	v_add_co_ci_u32_e64 v7, null, s1, v41, vcc_lo
	s_mov_b32 s1, 0x3fc55555
	s_mov_b32 s0, 0x55555555
	global_load_dwordx2 v[14:15], v[6:7], off
	s_mov_b32 s4, s0
	s_waitcnt vmcnt(0)
	buffer_store_dword v14, off, s[28:31], 0 offset:104 ; 4-byte Folded Spill
	buffer_store_dword v15, off, s[28:31], 0 offset:108 ; 4-byte Folded Spill
	;; [unrolled: 1-line block ×4, first 2 shown]
	v_div_scale_f64 v[6:7], null, v[14:15], v[14:15], v[18:19]
	v_rcp_f64_e32 v[40:41], v[6:7]
	v_fma_f64 v[42:43], -v[6:7], v[40:41], 1.0
	v_fma_f64 v[40:41], v[40:41], v[42:43], v[40:41]
	v_fma_f64 v[42:43], -v[6:7], v[40:41], 1.0
	v_fma_f64 v[40:41], v[40:41], v[42:43], v[40:41]
	v_div_scale_f64 v[42:43], vcc_lo, v[18:19], v[14:15], v[18:19]
	v_mul_f64 v[48:49], v[42:43], v[40:41]
	v_fma_f64 v[6:7], -v[6:7], v[48:49], v[42:43]
	v_div_fmas_f64 v[6:7], v[6:7], v[40:41], v[48:49]
	buffer_store_dword v6, off, s[28:31], 0 offset:112 ; 4-byte Folded Spill
	buffer_store_dword v7, off, s[28:31], 0 offset:116 ; 4-byte Folded Spill
	v_div_scale_f64 v[6:7], null, v[101:102], v[101:102], 1.0
	buffer_store_dword v4, off, s[28:31], 0 offset:272 ; 4-byte Folded Spill
	buffer_store_dword v5, off, s[28:31], 0 offset:276 ; 4-byte Folded Spill
	v_rcp_f64_e32 v[40:41], v[6:7]
	v_fma_f64 v[42:43], -v[6:7], v[40:41], 1.0
	v_fma_f64 v[40:41], v[40:41], v[42:43], v[40:41]
	v_fma_f64 v[42:43], -v[6:7], v[40:41], 1.0
	v_fma_f64 v[40:41], v[40:41], v[42:43], v[40:41]
	v_div_scale_f64 v[42:43], vcc_lo, 1.0, v[101:102], 1.0
	v_mul_f64 v[48:49], v[42:43], v[40:41]
	v_fma_f64 v[6:7], -v[6:7], v[48:49], v[42:43]
	v_div_fmas_f64 v[28:29], v[6:7], v[40:41], v[48:49]
	v_div_scale_f64 v[40:41], null, v[60:61], v[60:61], 1.0
	v_add_nc_u32_e32 v6, v97, v9
	v_add_nc_u32_e32 v90, s6, v6
	v_ashrrev_i32_e32 v91, 31, v90
	v_rcp_f64_e32 v[42:43], v[40:41]
	v_fma_f64 v[48:49], -v[40:41], v[42:43], 1.0
	v_fma_f64 v[42:43], v[42:43], v[48:49], v[42:43]
	v_fma_f64 v[48:49], -v[40:41], v[42:43], 1.0
	v_fma_f64 v[42:43], v[42:43], v[48:49], v[42:43]
	v_div_scale_f64 v[48:49], vcc_lo, 1.0, v[60:61], 1.0
	v_mul_f64 v[58:59], v[48:49], v[42:43]
	v_fma_f64 v[40:41], -v[40:41], v[58:59], v[48:49]
	v_div_fmas_f64 v[14:15], v[40:41], v[42:43], v[58:59]
	v_add_co_u32 v4, vcc_lo, s16, v4
	v_add_co_ci_u32_e64 v5, null, s17, v5, vcc_lo
	v_add_nc_u32_e32 v58, s6, v71
	global_load_dwordx2 v[4:5], v[4:5], off
	v_ashrrev_i32_e32 v59, 31, v58
	v_lshlrev_b64 v[82:83], 3, v[58:59]
	s_waitcnt vmcnt(0)
	v_add_f64 v[4:5], v[4:5], -v[44:45]
	v_fma_f64 v[26:27], v[2:3], v[4:5], v[0:1]
	v_add_nc_u32_e32 v0, v97, v80
	v_ashrrev_i32_e32 v1, 31, v0
	v_lshlrev_b64 v[0:1], 3, v[0:1]
	v_add_co_u32 v2, vcc_lo, s18, v0
	v_add_co_ci_u32_e64 v3, null, s19, v1, vcc_lo
	v_add_co_u32 v0, vcc_lo, s20, v0
	v_add_co_ci_u32_e64 v1, null, s21, v1, vcc_lo
	global_load_dwordx2 v[9:10], v[2:3], off
	global_load_dwordx2 v[36:37], v[0:1], off
	v_add_nc_u32_e32 v0, s11, v6
	v_ashrrev_i32_e32 v1, 31, v0
	v_lshlrev_b64 v[80:81], 3, v[0:1]
	v_add_nc_u32_e32 v0, s6, v0
	v_add_co_u32 v1, vcc_lo, s22, v80
	v_add_co_ci_u32_e64 v2, null, s23, v81, vcc_lo
	global_load_dwordx2 v[110:111], v[1:2], off
	v_ashrrev_i32_e32 v1, 31, v0
	v_lshlrev_b64 v[106:107], 3, v[0:1]
	v_add_co_u32 v0, vcc_lo, s22, v106
	v_add_co_ci_u32_e64 v1, null, s23, v107, vcc_lo
	v_add_co_u32 v126, vcc_lo, s16, v82
	v_add_co_ci_u32_e64 v127, null, s17, v83, vcc_lo
	global_load_dwordx2 v[32:33], v[0:1], off
	s_clause 0x1
	buffer_load_dword v2, off, s[28:31], 0 offset:144
	buffer_load_dword v3, off, s[28:31], 0 offset:148
	s_waitcnt vmcnt(4)
	v_add_f64 v[88:89], v[9:10], v[36:37]
	s_waitcnt vmcnt(3)
	v_mul_f64 v[0:1], v[88:89], v[110:111]
	s_waitcnt vmcnt(0)
	v_fma_f64 v[40:41], v[2:3], v[34:35], v[46:47]
	v_fma_f64 v[4:5], v[0:1], v[32:33], v[69:70]
	v_fma_f64 v[0:1], v[0:1], v[32:33], v[46:47]
	v_lshl_add_u32 v46, s6, 2, v39
	v_ashrrev_i32_e32 v47, 31, v46
	v_lshlrev_b64 v[46:47], 3, v[46:47]
	v_fma_f64 v[4:5], 0x40080000, v[40:41], v[4:5]
	global_load_dwordx4 v[40:43], v[126:127], off
	s_clause 0x1
	buffer_load_dword v2, off, s[28:31], 0 offset:176
	buffer_load_dword v3, off, s[28:31], 0 offset:180
	v_fma_f64 v[0:1], 0xbfe80000, v[0:1], v[118:119]
	v_lshlrev_b64 v[118:119], 3, v[90:91]
	s_waitcnt vmcnt(2)
	v_add_f64 v[40:41], v[40:41], -v[24:25]
	s_waitcnt vmcnt(0)
	v_fma_f64 v[40:41], v[4:5], v[40:41], v[2:3]
	v_add_co_u32 v4, vcc_lo, s16, v118
	v_add_co_ci_u32_e64 v5, null, s17, v119, vcc_lo
	global_load_dwordx4 v[68:71], v[4:5], off
	s_waitcnt vmcnt(0)
	v_add_f64 v[24:25], v[68:69], -v[24:25]
	v_mov_b32_e32 v68, v112
	v_mov_b32_e32 v69, v113
	v_fma_f64 v[40:41], v[0:1], v[24:25], v[40:41]
	v_add_nc_u32_e32 v0, s7, v95
	v_add_nc_u32_e32 v24, s7, v92
	v_ashrrev_i32_e32 v1, 31, v0
	v_ashrrev_i32_e32 v25, 31, v24
	v_lshlrev_b64 v[0:1], 3, v[0:1]
	v_lshlrev_b64 v[24:25], 3, v[24:25]
	v_add_co_u32 v0, vcc_lo, s22, v0
	v_add_co_ci_u32_e64 v1, null, s23, v1, vcc_lo
	v_add_co_u32 v24, vcc_lo, s22, v24
	v_add_co_ci_u32_e64 v25, null, s23, v25, vcc_lo
	v_add_co_u32 v91, vcc_lo, s22, v46
	v_add_nc_u32_e32 v46, s7, v58
	v_add_co_ci_u32_e64 v92, null, s23, v47, vcc_lo
	v_ashrrev_i32_e32 v47, 31, v46
	v_lshlrev_b64 v[46:47], 3, v[46:47]
	v_add_co_u32 v58, vcc_lo, s22, v46
	v_add_co_ci_u32_e64 v59, null, s23, v47, vcc_lo
	global_load_dwordx2 v[46:47], v[0:1], off
	buffer_store_dword v99, off, s[28:31], 0 offset:664 ; 4-byte Folded Spill
	buffer_store_dword v100, off, s[28:31], 0 offset:668 ; 4-byte Folded Spill
	v_mul_f64 v[0:1], v[60:61], v[99:100]
	s_waitcnt vmcnt(0)
	v_mul_f64 v[95:96], v[46:47], v[46:47]
	v_mul_f64 v[0:1], v[99:100], v[0:1]
	s_clause 0x3
	buffer_load_dword v2, off, s[28:31], 0 offset:8
	buffer_load_dword v3, off, s[28:31], 0 offset:12
	;; [unrolled: 1-line block ×4, first 2 shown]
	v_fma_f64 v[0:1], v[60:61], v[0:1], v[95:96]
	s_waitcnt vmcnt(2)
	v_mul_f64 v[0:1], v[2:3], v[0:1]
	s_waitcnt vmcnt(0)
	v_fma_f64 v[95:96], v[2:3], 2.0, v[99:100]
	v_mul_f64 v[6:7], v[95:96], v[68:69]
	buffer_store_dword v6, off, s[28:31], 0 offset:400 ; 4-byte Folded Spill
	buffer_store_dword v7, off, s[28:31], 0 offset:404 ; 4-byte Folded Spill
	global_load_dwordx2 v[11:12], v[24:25], off
	buffer_store_dword v84, off, s[28:31], 0 offset:640 ; 4-byte Folded Spill
	buffer_store_dword v85, off, s[28:31], 0 offset:644 ; 4-byte Folded Spill
	global_load_dwordx2 v[91:92], v[91:92], off
	v_mul_f64 v[95:96], v[101:102], v[6:7]
	v_mul_f64 v[24:25], v[60:61], v[84:85]
	s_waitcnt vmcnt(0)
	v_mul_f64 v[124:125], v[91:92], v[91:92]
	v_mul_f64 v[95:96], v[68:69], v[95:96]
	v_mul_f64 v[24:25], v[84:85], v[24:25]
	v_mov_b32_e32 v85, v35
	v_mov_b32_e32 v84, v34
	v_fma_f64 v[6:7], v[101:102], v[95:96], v[0:1]
	s_clause 0x3
	buffer_load_dword v0, off, s[28:31], 0 offset:72
	buffer_load_dword v1, off, s[28:31], 0 offset:76
	;; [unrolled: 1-line block ×4, first 2 shown]
	v_mul_f64 v[95:96], v[11:12], v[11:12]
	v_fma_f64 v[24:25], v[60:61], v[24:25], v[95:96]
	s_waitcnt vmcnt(2)
	v_mul_f64 v[95:96], v[60:61], v[0:1]
	v_mul_f64 v[95:96], v[0:1], v[95:96]
	s_clause 0x3
	buffer_load_dword v0, off, s[28:31], 0
	buffer_load_dword v1, off, s[28:31], 0 offset:4
	buffer_load_dword v2, off, s[28:31], 0 offset:56
	;; [unrolled: 1-line block ×3, first 2 shown]
	v_fma_f64 v[95:96], v[60:61], v[95:96], v[124:125]
	s_waitcnt vmcnt(2)
	v_mul_f64 v[24:25], v[0:1], v[24:25]
	s_waitcnt vmcnt(0)
	v_fma_f64 v[124:125], v[0:1], 2.0, v[2:3]
	v_mul_f64 v[2:3], v[124:125], v[108:109]
	buffer_store_dword v2, off, s[28:31], 0 offset:328 ; 4-byte Folded Spill
	buffer_store_dword v3, off, s[28:31], 0 offset:332 ; 4-byte Folded Spill
	global_load_dwordx2 v[0:1], v[58:59], off
	v_mul_f64 v[124:125], v[101:102], v[2:3]
	s_clause 0x5
	buffer_load_dword v2, off, s[28:31], 0 offset:64
	buffer_load_dword v3, off, s[28:31], 0 offset:68
	;; [unrolled: 1-line block ×6, first 2 shown]
	v_mul_f64 v[124:125], v[108:109], v[124:125]
	v_fma_f64 v[93:94], v[101:102], v[124:125], v[24:25]
	v_mul_f64 v[24:25], v[78:79], v[95:96]
	s_waitcnt vmcnt(6)
	v_mul_f64 v[78:79], v[0:1], v[0:1]
	v_mov_b32_e32 v125, v1
	v_mov_b32_e32 v124, v0
	s_waitcnt vmcnt(4)
	v_mul_f64 v[58:59], v[60:61], v[2:3]
	v_mul_f64 v[58:59], v[2:3], v[58:59]
	v_fma_f64 v[58:59], v[60:61], v[58:59], v[78:79]
	s_waitcnt vmcnt(0)
	v_fma_f64 v[78:79], v[116:117], 2.0, v[112:113]
	v_mul_f64 v[58:59], v[116:117], v[58:59]
	v_mul_f64 v[2:3], v[78:79], v[84:85]
	buffer_store_dword v2, off, s[28:31], 0 offset:372 ; 4-byte Folded Spill
	buffer_store_dword v3, off, s[28:31], 0 offset:376 ; 4-byte Folded Spill
	s_clause 0x3
	buffer_load_dword v16, off, s[28:31], 0 offset:552
	buffer_load_dword v17, off, s[28:31], 0 offset:556
	;; [unrolled: 1-line block ×4, first 2 shown]
	s_waitcnt vmcnt(2)
	v_mul_f64 v[50:51], v[50:51], v[16:17]
	v_mul_f64 v[78:79], v[101:102], v[2:3]
	;; [unrolled: 1-line block ×5, first 2 shown]
	v_fma_f64 v[78:79], v[101:102], v[78:79], v[58:59]
	v_fma_f64 v[0:1], v[101:102], v[50:51], v[24:25]
	v_add_f64 v[23:24], v[6:7], v[78:79]
	v_add_f64 v[50:51], v[93:94], v[0:1]
	;; [unrolled: 1-line block ×3, first 2 shown]
	v_fma_f64 v[58:59], 0x40080000, v[50:51], v[23:24]
	v_add_co_u32 v24, vcc_lo, s16, v56
	v_add_co_ci_u32_e64 v25, null, s17, v57, vcc_lo
	v_add_co_u32 v95, vcc_lo, s16, v52
	v_add_co_ci_u32_e64 v96, null, s17, v53, vcc_lo
	global_load_dwordx4 v[50:53], v[24:25], off
	v_fma_f64 v[6:7], 0xbfe80000, v[6:7], v[93:94]
	s_waitcnt vmcnt(0)
	v_add_f64 v[50:51], v[50:51], -v[44:45]
	v_mul_f64 v[50:51], v[50:51], v[58:59]
	global_load_dwordx4 v[56:59], v[95:96], off
	s_waitcnt vmcnt(0)
	v_add_f64 v[56:57], v[56:57], -v[44:45]
	v_fma_f64 v[2:3], v[56:57], v[6:7], v[50:51]
	v_add_nc_u32_e32 v6, s7, v90
	v_mov_b32_e32 v48, v60
	v_mov_b32_e32 v49, v61
	;; [unrolled: 1-line block ×4, first 2 shown]
	v_ashrrev_i32_e32 v7, 31, v6
	v_mov_b32_e32 v61, v10
	v_mov_b32_e32 v60, v9
	v_add_f64 v[56:57], v[0:1], v[78:79]
	v_lshlrev_b64 v[6:7], 3, v[6:7]
	v_add_co_u32 v6, vcc_lo, s22, v6
	v_add_co_ci_u32_e64 v7, null, s23, v7, vcc_lo
	global_load_dwordx2 v[34:35], v[6:7], off
	v_mul_f64 v[6:7], v[48:49], v[110:111]
	v_mul_f64 v[6:7], v[110:111], v[6:7]
	s_waitcnt vmcnt(0)
	v_mul_f64 v[22:23], v[34:35], v[34:35]
	v_fma_f64 v[6:7], v[48:49], v[6:7], v[22:23]
	v_fma_f64 v[22:23], v[60:61], 2.0, v[36:37]
	v_mul_f64 v[6:7], v[60:61], v[6:7]
	v_mul_f64 v[22:23], v[22:23], v[32:33]
	buffer_store_dword v22, off, s[28:31], 0 offset:440 ; 4-byte Folded Spill
	buffer_store_dword v23, off, s[28:31], 0 offset:444 ; 4-byte Folded Spill
	v_mul_f64 v[22:23], v[101:102], v[22:23]
	v_mul_f64 v[22:23], v[32:33], v[22:23]
	v_fma_f64 v[22:23], v[101:102], v[22:23], v[6:7]
	v_add_co_u32 v6, vcc_lo, s16, v54
	v_add_co_ci_u32_e64 v7, null, s17, v55, vcc_lo
	buffer_store_dword v101, off, s[28:31], 0 offset:648 ; 4-byte Folded Spill
	buffer_store_dword v102, off, s[28:31], 0 offset:652 ; 4-byte Folded Spill
	;; [unrolled: 1-line block ×4, first 2 shown]
	v_mov_b32_e32 v104, v19
	v_mov_b32_e32 v103, v18
	v_add_f64 v[54:55], v[93:94], v[22:23]
	v_add_f64 v[0:1], v[0:1], v[22:23]
	v_add_co_u32 v22, vcc_lo, s16, v80
	v_add_co_ci_u32_e64 v23, null, s17, v81, vcc_lo
	v_fma_f64 v[93:94], 0x40080000, v[56:57], v[54:55]
	global_load_dwordx4 v[54:57], v[6:7], off
	v_fma_f64 v[0:1], 0xbfe80000, v[0:1], v[78:79]
	global_load_dwordx4 v[78:81], v[22:23], off
	s_waitcnt vmcnt(1)
	v_add_f64 v[54:55], v[54:55], -v[44:45]
	s_waitcnt vmcnt(0)
	v_add_f64 v[44:45], v[78:79], -v[44:45]
	v_fma_f64 v[2:3], v[54:55], v[93:94], v[2:3]
	v_div_fixup_f64 v[54:55], v[28:29], v[101:102], 1.0
	v_fma_f64 v[0:1], v[44:45], v[0:1], v[2:3]
	v_mul_f64 v[2:3], v[114:115], s[0:1]
	v_div_fixup_f64 v[114:115], v[14:15], v[48:49], 1.0
	v_mul_f64 v[14:15], v[26:27], s[0:1]
	v_mul_f64 v[0:1], v[0:1], s[0:1]
	v_fma_f64 v[2:3], v[54:55], v[2:3], 0
	v_fma_f64 v[2:3], v[114:115], v[14:15], v[2:3]
	v_mul_f64 v[14:15], v[114:115], v[54:55]
	v_fma_f64 v[2:3], v[40:41], s[0:1], v[2:3]
	v_fma_f64 v[0:1], v[14:15], v[0:1], v[2:3]
	buffer_store_dword v0, off, s[28:31], 0 offset:228 ; 4-byte Folded Spill
	buffer_store_dword v1, off, s[28:31], 0 offset:232 ; 4-byte Folded Spill
	s_clause 0x5
	buffer_load_dword v0, off, s[28:31], 0 offset:296
	buffer_load_dword v1, off, s[28:31], 0 offset:300
	;; [unrolled: 1-line block ×6, first 2 shown]
	s_waitcnt vmcnt(4)
	v_mul_f64 v[0:1], v[0:1], v[16:17]
	s_waitcnt vmcnt(2)
	v_mul_f64 v[2:3], v[2:3], v[84:85]
	s_waitcnt vmcnt(0)
	v_mul_f64 v[14:15], v[9:10], v[68:69]
	s_clause 0x1
	buffer_load_dword v9, off, s[28:31], 0 offset:312
	buffer_load_dword v10, off, s[28:31], 0 offset:316
	buffer_store_dword v124, off, s[28:31], 0 offset:176 ; 4-byte Folded Spill
	buffer_store_dword v125, off, s[28:31], 0 offset:180 ; 4-byte Folded Spill
	buffer_store_dword v46, off, s[28:31], 0 offset:208 ; 4-byte Folded Spill
	buffer_store_dword v47, off, s[28:31], 0 offset:212 ; 4-byte Folded Spill
	buffer_store_dword v11, off, s[28:31], 0 offset:144 ; 4-byte Folded Spill
	buffer_store_dword v12, off, s[28:31], 0 offset:148 ; 4-byte Folded Spill
	v_mul_f64 v[0:1], v[0:1], v[91:92]
	v_mul_f64 v[26:27], v[2:3], v[124:125]
	s_waitcnt vmcnt(0)
	v_mul_f64 v[18:19], v[9:10], v[108:109]
	s_clause 0x1
	buffer_load_dword v9, off, s[28:31], 0 offset:264
	buffer_load_dword v10, off, s[28:31], 0 offset:268
	v_fma_f64 v[2:3], v[2:3], v[124:125], v[0:1]
	v_fma_f64 v[39:40], v[14:15], v[46:47], v[26:27]
	;; [unrolled: 1-line block ×3, first 2 shown]
	v_mul_f64 v[18:19], v[18:19], v[11:12]
	v_fma_f64 v[14:15], v[14:15], v[46:47], v[0:1]
	v_fma_f64 v[39:40], 0x40080000, v[44:45], v[39:40]
	;; [unrolled: 1-line block ×3, first 2 shown]
	s_waitcnt vmcnt(1)
	v_add_co_u32 v44, vcc_lo, s16, v9
	s_waitcnt vmcnt(0)
	v_add_co_ci_u32_e64 v45, null, s17, v10, vcc_lo
	v_add_co_u32 v72, vcc_lo, s16, v72
	v_add_co_ci_u32_e64 v73, null, s17, v73, vcc_lo
	s_clause 0x1
	global_load_dwordx2 v[44:45], v[44:45], off
	global_load_dwordx2 v[72:73], v[72:73], off
	v_add_co_u32 v76, vcc_lo, s16, v76
	v_add_co_ci_u32_e64 v77, null, s17, v77, vcc_lo
	s_waitcnt vmcnt(0)
	v_add_f64 v[72:73], v[72:73], -v[44:45]
	v_mul_f64 v[39:40], v[39:40], v[72:73]
	global_load_dwordx2 v[72:73], v[76:77], off
	s_clause 0x1
	buffer_load_dword v9, off, s[28:31], 0 offset:248
	buffer_load_dword v10, off, s[28:31], 0 offset:252
	buffer_store_dword v34, off, s[28:31], 0 offset:448 ; 4-byte Folded Spill
	buffer_store_dword v35, off, s[28:31], 0 offset:452 ; 4-byte Folded Spill
	s_waitcnt vmcnt(2)
	v_add_f64 v[72:73], v[72:73], -v[44:45]
	v_fma_f64 v[14:15], v[14:15], v[72:73], v[39:40]
	v_mul_f64 v[72:73], v[88:89], v[32:33]
	s_waitcnt vmcnt(1)
	v_add_co_u32 v39, vcc_lo, s16, v9
	s_waitcnt vmcnt(0)
	v_add_co_ci_u32_e64 v40, null, s17, v10, vcc_lo
	buffer_load_dword v9, off, s[28:31], 0 offset:280 ; 4-byte Folded Reload
	v_fma_f64 v[18:19], v[72:73], v[34:35], v[18:19]
	v_fma_f64 v[0:1], v[72:73], v[34:35], v[0:1]
	;; [unrolled: 1-line block ×3, first 2 shown]
	global_load_dwordx2 v[18:19], v[39:40], off
	v_fma_f64 v[0:1], 0xbfe80000, v[0:1], v[26:27]
	s_waitcnt vmcnt(0)
	v_add_f64 v[18:19], v[18:19], -v[44:45]
	v_fma_f64 v[2:3], v[2:3], v[18:19], v[14:15]
	v_add_co_u32 v14, vcc_lo, s16, v106
	v_add_co_ci_u32_e64 v15, null, s17, v107, vcc_lo
	v_add_nc_u32_e32 v18, s6, v64
	v_mov_b32_e32 v64, v65
	v_mov_b32_e32 v65, v66
	global_load_dwordx2 v[14:15], v[14:15], off
	v_add3_u32 v41, v67, s10, v18
	v_add3_u32 v88, v9, s10, v18
	;; [unrolled: 1-line block ×4, first 2 shown]
	v_add_nc_u32_e32 v26, v41, v75
	v_add_nc_u32_e32 v39, v88, v75
	;; [unrolled: 1-line block ×5, first 2 shown]
	v_ashrrev_i32_e32 v27, 31, v26
	v_ashrrev_i32_e32 v40, 31, v39
	;; [unrolled: 1-line block ×5, first 2 shown]
	v_lshlrev_b64 v[26:27], 3, v[26:27]
	v_lshlrev_b64 v[39:40], 3, v[39:40]
	;; [unrolled: 1-line block ×5, first 2 shown]
	v_add_nc_u32_e32 v86, v41, v98
	v_ashrrev_i32_e32 v87, 31, v86
	v_lshlrev_b64 v[86:87], 3, v[86:87]
	s_waitcnt vmcnt(0)
	v_add_f64 v[14:15], v[14:15], -v[44:45]
	v_add_nc_u32_e32 v44, v90, v75
	v_ashrrev_i32_e32 v45, 31, v44
	v_lshlrev_b64 v[44:45], 3, v[44:45]
	v_fma_f64 v[0:1], v[0:1], v[14:15], v[2:3]
	v_add_nc_u32_e32 v2, v41, v8
	v_add_nc_u32_e32 v14, v88, v8
	v_ashrrev_i32_e32 v3, 31, v2
	v_ashrrev_i32_e32 v15, 31, v14
	v_lshlrev_b64 v[2:3], 3, v[2:3]
	v_lshlrev_b64 v[14:15], 3, v[14:15]
	v_add_co_u32 v2, vcc_lo, s16, v2
	v_add_co_ci_u32_e64 v3, null, s17, v3, vcc_lo
	v_add_co_u32 v14, vcc_lo, s16, v14
	v_add_co_ci_u32_e64 v15, null, s17, v15, vcc_lo
	;; [unrolled: 2-line block ×4, first 2 shown]
	s_clause 0x3
	global_load_dwordx2 v[2:3], v[2:3], off
	global_load_dwordx2 v[14:15], v[14:15], off
	;; [unrolled: 1-line block ×4, first 2 shown]
	v_mul_f64 v[0:1], v[0:1], s[0:1]
	buffer_store_dword v0, off, s[28:31], 0 offset:248 ; 4-byte Folded Spill
	buffer_store_dword v1, off, s[28:31], 0 offset:252 ; 4-byte Folded Spill
	s_mov_b32 s1, 0x3fb55555
	v_add_co_u32 v26, vcc_lo, s16, v26
	v_add_co_ci_u32_e64 v27, null, s17, v27, vcc_lo
	v_add_co_u32 v39, vcc_lo, s16, v39
	v_add_co_ci_u32_e64 v40, null, s17, v40, vcc_lo
	;; [unrolled: 2-line block ×3, first 2 shown]
	s_waitcnt vmcnt(2)
	v_add_f64 v[0:1], v[2:3], -v[14:15]
	s_waitcnt vmcnt(0)
	v_add_f64 v[72:73], v[16:17], -v[18:19]
	v_mul_f64 v[0:1], v[0:1], s[0:1]
	v_fma_f64 v[0:1], v[72:73], s[4:5], -v[0:1]
	v_add_nc_u32_e32 v72, v92, v75
	v_add_nc_u32_e32 v92, v92, v98
	v_ashrrev_i32_e32 v73, 31, v72
	v_ashrrev_i32_e32 v93, 31, v92
	v_lshlrev_b64 v[72:73], 3, v[72:73]
	v_lshlrev_b64 v[92:93], 3, v[92:93]
	v_add_co_u32 v72, vcc_lo, s16, v72
	v_add_co_ci_u32_e64 v73, null, s17, v73, vcc_lo
	s_clause 0x3
	global_load_dwordx2 v[26:27], v[26:27], off
	global_load_dwordx2 v[39:40], v[39:40], off
	;; [unrolled: 1-line block ×4, first 2 shown]
	buffer_store_dword v120, off, s[28:31], 0 offset:336 ; 4-byte Folded Spill
	buffer_store_dword v121, off, s[28:31], 0 offset:340 ; 4-byte Folded Spill
	s_clause 0x1
	buffer_load_dword v8, off, s[28:31], 0 offset:40
	buffer_load_dword v9, off, s[28:31], 0 offset:44
	buffer_store_dword v20, off, s[28:31], 0 offset:360 ; 4-byte Folded Spill
	buffer_store_dword v21, off, s[28:31], 0 offset:364 ; 4-byte Folded Spill
	s_waitcnt vmcnt(5)
	v_add_f64 v[2:3], v[2:3], -v[26:27]
	s_waitcnt vmcnt(4)
	v_add_f64 v[74:75], v[26:27], -v[39:40]
	v_add_f64 v[14:15], v[14:15], -v[39:40]
	s_waitcnt vmcnt(2)
	v_add_f64 v[76:77], v[44:45], -v[72:73]
	v_mul_f64 v[2:3], v[2:3], s[0:1]
	v_mul_f64 v[74:75], v[74:75], s[0:1]
	;; [unrolled: 1-line block ×3, first 2 shown]
	v_fma_f64 v[74:75], v[76:77], s[4:5], -v[74:75]
	s_waitcnt vmcnt(0)
	v_mul_f64 v[76:77], v[8:9], v[120:121]
	v_mul_f64 v[76:77], v[120:121], v[76:77]
	;; [unrolled: 1-line block ×5, first 2 shown]
	v_fma_f64 v[0:1], v[76:77], v[0:1], -v[74:75]
	buffer_store_dword v0, off, s[28:31], 0 offset:264 ; 4-byte Folded Spill
	buffer_store_dword v1, off, s[28:31], 0 offset:268 ; 4-byte Folded Spill
	v_add_nc_u32_e32 v0, v41, v38
	v_add_nc_u32_e32 v74, v88, v38
	;; [unrolled: 1-line block ×5, first 2 shown]
	v_ashrrev_i32_e32 v1, 31, v0
	v_ashrrev_i32_e32 v75, 31, v74
	;; [unrolled: 1-line block ×5, first 2 shown]
	v_lshlrev_b64 v[0:1], 3, v[0:1]
	v_lshlrev_b64 v[74:75], 3, v[74:75]
	;; [unrolled: 1-line block ×5, first 2 shown]
	v_add_co_u32 v0, vcc_lo, s16, v0
	v_add_co_ci_u32_e64 v1, null, s17, v1, vcc_lo
	v_add_co_u32 v74, vcc_lo, s16, v74
	v_add_co_ci_u32_e64 v75, null, s17, v75, vcc_lo
	;; [unrolled: 2-line block ×4, first 2 shown]
	s_clause 0x3
	global_load_dwordx2 v[0:1], v[0:1], off
	global_load_dwordx2 v[74:75], v[74:75], off
	;; [unrolled: 1-line block ×4, first 2 shown]
	v_add_co_u32 v86, vcc_lo, s16, v86
	v_add_co_ci_u32_e64 v87, null, s17, v87, vcc_lo
	v_add_co_u32 v88, vcc_lo, s16, v88
	v_add_co_ci_u32_e64 v89, null, s17, v89, vcc_lo
	;; [unrolled: 2-line block ×4, first 2 shown]
	s_clause 0x3
	global_load_dwordx2 v[86:87], v[86:87], off
	global_load_dwordx2 v[88:89], v[88:89], off
	;; [unrolled: 1-line block ×4, first 2 shown]
	buffer_store_dword v64, off, s[28:31], 0 offset:352 ; 4-byte Folded Spill
	buffer_store_dword v65, off, s[28:31], 0 offset:356 ; 4-byte Folded Spill
	s_clause 0x1
	buffer_load_dword v8, off, s[28:31], 0 offset:16
	buffer_load_dword v9, off, s[28:31], 0 offset:20
	s_waitcnt vmcnt(8)
	v_add_f64 v[106:107], v[0:1], -v[74:75]
	s_waitcnt vmcnt(6)
	v_add_f64 v[120:121], v[76:77], -v[78:79]
	;; [unrolled: 2-line block ×5, first 2 shown]
	v_mul_f64 v[106:107], v[106:107], s[0:1]
	v_fma_f64 v[0:1], v[0:1], s[4:5], -v[2:3]
	v_fma_f64 v[14:15], v[26:27], s[4:5], -v[14:15]
	;; [unrolled: 1-line block ×3, first 2 shown]
	v_add_f64 v[120:121], v[86:87], -v[88:89]
	v_mul_f64 v[120:121], v[120:121], s[0:1]
	v_fma_f64 v[120:121], v[124:125], s[4:5], -v[120:121]
	s_waitcnt vmcnt(0)
	v_mul_f64 v[124:125], v[8:9], v[64:65]
	s_clause 0x3
	buffer_load_dword v66, off, s[28:31], 0 offset:48
	buffer_load_dword v67, off, s[28:31], 0 offset:52
	;; [unrolled: 1-line block ×4, first 2 shown]
	v_mul_f64 v[124:125], v[64:65], v[124:125]
	v_mul_f64 v[120:121], v[124:125], v[120:121]
	s_waitcnt vmcnt(0)
	v_mul_f64 v[124:125], v[8:9], v[66:67]
	v_mul_f64 v[124:125], v[66:67], v[124:125]
	v_fma_f64 v[8:9], v[124:125], v[106:107], -v[120:121]
	buffer_store_dword v8, off, s[28:31], 0 offset:296 ; 4-byte Folded Spill
	buffer_store_dword v9, off, s[28:31], 0 offset:300 ; 4-byte Folded Spill
	s_clause 0x1
	buffer_load_dword v2, off, s[28:31], 0 offset:616
	buffer_load_dword v3, off, s[28:31], 0 offset:620
	v_mov_b32_e32 v125, v61
	v_mov_b32_e32 v124, v60
	s_waitcnt vmcnt(0)
	v_mul_f64 v[2:3], v[2:3], v[14:15]
	v_add_f64 v[14:15], v[76:77], -v[90:91]
	v_add_f64 v[76:77], v[80:81], -v[58:59]
	v_fma_f64 v[0:1], v[122:123], v[0:1], -v[2:3]
	buffer_store_dword v0, off, s[28:31], 0 offset:304 ; 4-byte Folded Spill
	buffer_store_dword v1, off, s[28:31], 0 offset:308 ; 4-byte Folded Spill
	s_clause 0x1
	buffer_load_dword v8, off, s[28:31], 0 offset:600
	buffer_load_dword v9, off, s[28:31], 0 offset:604
	v_add_f64 v[0:1], v[18:19], -v[72:73]
	v_add_f64 v[2:3], v[16:17], -v[44:45]
	;; [unrolled: 1-line block ×3, first 2 shown]
	v_mul_f64 v[0:1], v[0:1], s[0:1]
	v_mul_f64 v[2:3], v[2:3], s[0:1]
	v_fma_f64 v[0:1], v[16:17], s[4:5], -v[0:1]
	v_fma_f64 v[2:3], v[14:15], s[4:5], -v[2:3]
	s_waitcnt vmcnt(0)
	v_mul_f64 v[0:1], v[8:9], v[0:1]
	s_clause 0x1
	buffer_load_dword v8, off, s[28:31], 0 offset:632
	buffer_load_dword v9, off, s[28:31], 0 offset:636
	s_waitcnt vmcnt(0)
	v_fma_f64 v[0:1], v[8:9], v[2:3], -v[0:1]
	buffer_store_dword v0, off, s[28:31], 0 offset:312 ; 4-byte Folded Spill
	buffer_store_dword v1, off, s[28:31], 0 offset:316 ; 4-byte Folded Spill
	s_clause 0x3
	global_load_dwordx2 v[14:15], v[4:5], off offset:16
	global_load_dwordx4 v[2:5], v[4:5], off offset:-16
	global_load_dwordx2 v[26:27], v[22:23], off offset:16
	global_load_dwordx4 v[28:31], v[22:23], off offset:-16
	v_add_co_u32 v8, vcc_lo, s22, v118
	v_add_co_ci_u32_e64 v9, null, s23, v119, vcc_lo
	v_mul_f64 v[0:1], v[36:37], v[32:33]
	global_load_dwordx2 v[120:121], v[8:9], off
	v_mul_f64 v[8:9], v[60:61], v[110:111]
	v_mov_b32_e32 v63, v51
	v_mov_b32_e32 v62, v50
	;; [unrolled: 1-line block ×4, first 2 shown]
	s_waitcnt vmcnt(3)
	v_add_f64 v[10:11], v[14:15], -v[2:3]
	v_add_f64 v[12:13], v[70:71], -v[4:5]
	s_waitcnt vmcnt(1)
	v_add_f64 v[16:17], v[80:81], -v[30:31]
	s_waitcnt vmcnt(0)
	v_mul_f64 v[44:45], v[8:9], v[120:121]
	v_mul_f64 v[0:1], v[0:1], v[120:121]
	;; [unrolled: 1-line block ×3, first 2 shown]
	v_fma_f64 v[10:11], v[12:13], s[4:5], -v[10:11]
	v_add_f64 v[12:13], v[26:27], -v[28:29]
	v_mul_f64 v[12:13], v[12:13], s[0:1]
	v_fma_f64 v[12:13], v[16:17], s[4:5], -v[12:13]
	v_mul_f64 v[8:9], v[44:45], v[12:13]
	v_mul_f64 v[8:9], v[48:49], v[8:9]
	;; [unrolled: 1-line block ×3, first 2 shown]
	v_fma_f64 v[0:1], v[0:1], v[10:11], v[8:9]
	buffer_store_dword v0, off, s[28:31], 0 offset:280 ; 4-byte Folded Spill
	buffer_store_dword v1, off, s[28:31], 0 offset:284 ; 4-byte Folded Spill
	s_clause 0x5
	buffer_load_dword v0, off, s[28:31], 0 offset:520
	buffer_load_dword v1, off, s[28:31], 0 offset:524
	;; [unrolled: 1-line block ×6, first 2 shown]
	v_mul_f64 v[8:9], v[99:100], v[68:69]
	v_mov_b32_e32 v68, v105
	s_waitcnt vmcnt(5)
	v_add_co_u32 v0, vcc_lo, s22, v0
	s_waitcnt vmcnt(0)
	v_mov_b32_e32 v10, v12
	v_mov_b32_e32 v11, v13
	s_clause 0x1
	buffer_load_dword v12, off, s[28:31], 0 offset:288
	buffer_load_dword v13, off, s[28:31], 0 offset:292
	v_add_co_ci_u32_e64 v1, null, s23, v1, vcc_lo
	global_load_dwordx2 v[38:39], v[95:96], off offset:16
	v_add_f64 v[46:47], v[70:71], -v[10:11]
	global_load_dwordx2 v[118:119], v[0:1], off
	s_waitcnt vmcnt(2)
	s_clause 0x1
	global_load_dwordx4 v[32:35], v[12:13], off offset:-16
	global_load_dwordx2 v[22:23], v[12:13], off offset:16
	s_waitcnt vmcnt(1)
	v_add_f64 v[17:18], v[2:3], -v[32:33]
	v_add_f64 v[36:37], v[4:5], -v[34:35]
	global_load_dwordx4 v[2:5], v[95:96], off offset:-16
	s_waitcnt vmcnt(1)
	v_add_f64 v[12:13], v[22:23], -v[32:33]
	v_add_f64 v[10:11], v[10:11], -v[34:35]
	s_waitcnt vmcnt(0)
	v_add_f64 v[32:33], v[58:59], -v[4:5]
	v_add_f64 v[74:75], v[30:31], -v[4:5]
	v_mul_f64 v[4:5], v[12:13], s[0:1]
	v_add_f64 v[34:35], v[28:29], -v[2:3]
	v_add_f64 v[2:3], v[38:39], -v[2:3]
	v_mul_f64 v[28:29], v[112:113], v[84:85]
	v_fma_f64 v[4:5], v[10:11], s[4:5], -v[4:5]
	s_clause 0x3
	buffer_load_dword v0, off, s[28:31], 0 offset:8
	buffer_load_dword v1, off, s[28:31], 0 offset:12
	;; [unrolled: 1-line block ×4, first 2 shown]
	v_mul_f64 v[2:3], v[2:3], s[0:1]
	v_fma_f64 v[2:3], v[32:33], s[4:5], -v[2:3]
	s_waitcnt vmcnt(0)
	v_mul_f64 v[0:1], v[0:1], v[10:11]
	v_mul_f64 v[12:13], v[0:1], v[118:119]
	;; [unrolled: 1-line block ×6, first 2 shown]
	v_fma_f64 v[0:1], v[2:3], v[4:5], v[0:1]
	buffer_store_dword v0, off, s[28:31], 0 offset:288 ; 4-byte Folded Spill
	buffer_store_dword v1, off, s[28:31], 0 offset:292 ; 4-byte Folded Spill
	s_clause 0x1
	global_load_dwordx2 v[66:67], v[126:127], off offset:16
	global_load_dwordx4 v[2:5], v[126:127], off offset:-16
	v_add_co_u32 v0, vcc_lo, s22, v82
	v_add_co_ci_u32_e64 v1, null, s23, v83, vcc_lo
	s_waitcnt vmcnt(0)
	v_add_f64 v[8:9], v[66:67], -v[2:3]
	v_add_f64 v[10:11], v[42:43], -v[4:5]
	v_mul_f64 v[8:9], v[8:9], s[0:1]
	v_fma_f64 v[30:31], v[10:11], s[4:5], -v[8:9]
	s_clause 0x1
	global_load_dwordx2 v[70:71], v[6:7], off offset:16
	global_load_dwordx4 v[8:11], v[6:7], off offset:-16
	global_load_dwordx2 v[48:49], v[0:1], off
	s_clause 0x1
	buffer_load_dword v0, off, s[28:31], 0 offset:64
	buffer_load_dword v1, off, s[28:31], 0 offset:68
	s_waitcnt vmcnt(3)
	v_add_f64 v[6:7], v[70:71], -v[8:9]
	v_add_f64 v[32:33], v[56:57], -v[10:11]
	s_waitcnt vmcnt(0)
	v_mul_f64 v[0:1], v[116:117], v[0:1]
	v_mul_f64 v[6:7], v[6:7], s[0:1]
	;; [unrolled: 1-line block ×3, first 2 shown]
	v_fma_f64 v[6:7], v[32:33], s[4:5], -v[6:7]
	v_mul_f64 v[0:1], v[40:41], v[6:7]
	v_mul_f64 v[6:7], v[28:29], v[48:49]
	;; [unrolled: 1-line block ×4, first 2 shown]
	v_fma_f64 v[0:1], v[6:7], v[30:31], v[0:1]
	buffer_store_dword v0, off, s[28:31], 0 offset:64 ; 4-byte Folded Spill
	buffer_store_dword v1, off, s[28:31], 0 offset:68 ; 4-byte Folded Spill
	s_clause 0x9
	buffer_load_dword v0, off, s[28:31], 0 offset:496
	buffer_load_dword v1, off, s[28:31], 0 offset:500
	;; [unrolled: 1-line block ×10, first 2 shown]
	s_waitcnt vmcnt(9)
	v_add_co_u32 v0, vcc_lo, s22, v0
	s_waitcnt vmcnt(8)
	v_add_co_ci_u32_e64 v1, null, s23, v1, vcc_lo
	s_waitcnt vmcnt(2)
	v_mov_b32_e32 v28, v30
	v_mov_b32_e32 v29, v31
	s_waitcnt vmcnt(0)
	global_load_dwordx4 v[30:33], v[19:20], off offset:-16
	global_load_dwordx2 v[126:127], v[0:1], off
	v_mul_f64 v[6:7], v[6:7], v[108:109]
	v_add_f64 v[58:59], v[42:43], -v[28:29]
	v_add_f64 v[42:43], v[56:57], -v[52:53]
	s_waitcnt vmcnt(1)
	v_add_f64 v[64:65], v[28:29], -v[32:33]
	v_add_f64 v[28:29], v[4:5], -v[32:33]
	global_load_dwordx2 v[4:5], v[19:20], off offset:16
	v_add_f64 v[2:3], v[2:3], -v[30:31]
	s_waitcnt vmcnt(1)
	v_mul_f64 v[6:7], v[6:7], v[126:127]
	s_waitcnt vmcnt(0)
	v_add_f64 v[72:73], v[4:5], -v[30:31]
	global_load_dwordx4 v[30:33], v[24:25], off offset:-16
	v_add_f64 v[4:5], v[66:67], -v[4:5]
	s_waitcnt vmcnt(0)
	v_add_f64 v[56:57], v[10:11], -v[32:33]
	global_load_dwordx2 v[10:11], v[24:25], off offset:16
	s_clause 0x3
	buffer_load_dword v0, off, s[28:31], 0
	buffer_load_dword v1, off, s[28:31], 0 offset:4
	buffer_load_dword v19, off, s[28:31], 0 offset:640
	;; [unrolled: 1-line block ×3, first 2 shown]
	v_add_f64 v[52:53], v[52:53], -v[32:33]
	v_add_f64 v[8:9], v[8:9], -v[30:31]
	s_waitcnt vmcnt(4)
	v_add_f64 v[24:25], v[10:11], -v[30:31]
	s_waitcnt vmcnt(0)
	v_mul_f64 v[0:1], v[0:1], v[19:20]
	v_mul_f64 v[30:31], v[72:73], s[0:1]
	v_add_f64 v[10:11], v[70:71], -v[10:11]
	v_mul_f64 v[24:25], v[24:25], s[0:1]
	v_fma_f64 v[30:31], v[64:65], s[4:5], -v[30:31]
	v_fma_f64 v[24:25], v[52:53], s[4:5], -v[24:25]
	v_mul_f64 v[52:53], v[0:1], v[126:127]
	v_mul_f64 v[0:1], v[52:53], v[24:25]
	;; [unrolled: 1-line block ×4, first 2 shown]
	v_fma_f64 v[0:1], v[6:7], v[30:31], v[0:1]
	buffer_store_dword v0, off, s[28:31], 0 offset:320 ; 4-byte Folded Spill
	buffer_store_dword v1, off, s[28:31], 0 offset:324 ; 4-byte Folded Spill
	s_clause 0x1
	buffer_load_dword v30, off, s[28:31], 0 offset:488
	buffer_load_dword v31, off, s[28:31], 0 offset:492
	v_add_f64 v[0:1], v[26:27], -v[38:39]
	v_mul_f64 v[0:1], v[0:1], s[0:1]
	v_fma_f64 v[0:1], v[10:11], s[4:5], -v[0:1]
	s_waitcnt vmcnt(0)
	global_load_dwordx2 v[6:7], v[30:31], off offset:16
	s_clause 0x3
	buffer_load_dword v19, off, s[28:31], 0 offset:608
	buffer_load_dword v20, off, s[28:31], 0 offset:612
	;; [unrolled: 1-line block ×4, first 2 shown]
	s_waitcnt vmcnt(2)
	v_mul_f64 v[6:7], v[19:20], v[6:7]
	s_waitcnt vmcnt(0)
	global_load_dwordx2 v[24:25], v[26:27], off offset:16
	s_waitcnt vmcnt(0)
	v_mul_f64 v[24:25], v[19:20], v[24:25]
	s_clause 0x1
	buffer_load_dword v19, off, s[28:31], 0 offset:592
	buffer_load_dword v20, off, s[28:31], 0 offset:596
	s_waitcnt vmcnt(0)
	v_mul_f64 v[10:11], v[19:20], v[24:25]
	v_mul_f64 v[6:7], v[19:20], v[6:7]
	;; [unrolled: 1-line block ×3, first 2 shown]
	v_add_f64 v[10:11], v[14:15], -v[22:23]
	s_clause 0x1
	buffer_load_dword v14, off, s[28:31], 0 offset:624
	buffer_load_dword v15, off, s[28:31], 0 offset:628
	v_mul_f64 v[10:11], v[10:11], s[0:1]
	v_fma_f64 v[4:5], v[4:5], s[4:5], -v[10:11]
	s_waitcnt vmcnt(0)
	v_mul_f64 v[0:1], v[14:15], v[0:1]
	v_mul_f64 v[0:1], v[54:55], v[0:1]
	v_fma_f64 v[0:1], v[4:5], v[6:7], v[0:1]
	buffer_store_dword v0, off, s[28:31], 0 offset:56 ; 4-byte Folded Spill
	buffer_store_dword v1, off, s[28:31], 0 offset:60 ; 4-byte Folded Spill
	s_clause 0x5
	buffer_load_dword v0, off, s[28:31], 0 offset:584
	buffer_load_dword v1, off, s[28:31], 0 offset:588
	;; [unrolled: 1-line block ×6, first 2 shown]
	global_load_dwordx4 v[24:27], v[26:27], off offset:-16
	s_clause 0x1
	buffer_load_dword v10, off, s[28:31], 0 offset:456
	buffer_load_dword v11, off, s[28:31], 0 offset:460
	s_waitcnt vmcnt(7)
	v_mul_f64 v[4:5], v[0:1], v[103:104]
	s_waitcnt vmcnt(3)
	v_mul_f64 v[20:21], v[0:1], v[21:22]
	v_mul_f64 v[0:1], v[34:35], s[0:1]
	s_waitcnt vmcnt(0)
	v_mul_f64 v[6:7], v[10:11], v[24:25]
	s_clause 0x3
	buffer_load_dword v22, off, s[28:31], 0 offset:464
	buffer_load_dword v23, off, s[28:31], 0 offset:468
	;; [unrolled: 1-line block ×4, first 2 shown]
	v_fma_f64 v[0:1], v[8:9], s[4:5], -v[0:1]
	s_waitcnt vmcnt(2)
	v_mul_f64 v[6:7], v[22:23], v[6:7]
	v_mul_f64 v[8:9], v[0:1], v[6:7]
	;; [unrolled: 1-line block ×3, first 2 shown]
	global_load_dwordx4 v[14:17], v[30:31], off offset:-16
	s_clause 0x3
	buffer_load_dword v30, off, s[28:31], 0 offset:408
	buffer_load_dword v31, off, s[28:31], 0 offset:412
	buffer_load_dword v32, off, s[28:31], 0 offset:416
	buffer_load_dword v33, off, s[28:31], 0 offset:420
	v_fma_f64 v[0:1], v[2:3], s[4:5], -v[0:1]
	s_waitcnt vmcnt(2)
	v_mul_f64 v[6:7], v[30:31], v[8:9]
	v_mul_f64 v[2:3], v[10:11], v[14:15]
	;; [unrolled: 1-line block ×4, first 2 shown]
	v_fma_f64 v[2:3], v[0:1], v[2:3], v[6:7]
	s_clause 0x3
	buffer_load_dword v6, off, s[28:31], 0 offset:424
	buffer_load_dword v7, off, s[28:31], 0 offset:428
	;; [unrolled: 1-line block ×4, first 2 shown]
	s_waitcnt vmcnt(0)
	v_mov_b32_e32 v6, v8
	v_mov_b32_e32 v7, v9
	s_clause 0x2
	buffer_load_dword v8, off, s[28:31], 0 offset:380
	buffer_load_dword v9, off, s[28:31], 0 offset:384
	;; [unrolled: 1-line block ×3, first 2 shown]
	v_mul_f64 v[0:1], v[6:7], v[4:5]
	v_mul_f64 v[4:5], v[6:7], v[20:21]
	;; [unrolled: 1-line block ×3, first 2 shown]
	v_fma_f64 v[6:7], v[42:43], s[4:5], -v[6:7]
	v_mul_f64 v[4:5], v[6:7], v[4:5]
	v_mul_f64 v[4:5], v[62:63], v[4:5]
	;; [unrolled: 1-line block ×3, first 2 shown]
	s_waitcnt vmcnt(1)
	v_mul_f64 v[6:7], v[8:9], v[16:17]
	v_mul_f64 v[10:11], v[8:9], v[26:27]
	;; [unrolled: 1-line block ×3, first 2 shown]
	s_clause 0x1
	buffer_load_dword v47, off, s[28:31], 0 offset:392
	buffer_load_dword v46, off, s[28:31], 0 offset:388
	v_fma_f64 v[8:9], v[58:59], s[4:5], -v[8:9]
	v_fma_f64 v[8:9], v[8:9], v[0:1], v[4:5]
	v_mov_b32_e32 v4, v24
	v_mov_b32_e32 v5, v25
	v_mul_f64 v[0:1], v[4:5], v[6:7]
	v_mul_f64 v[6:7], v[74:75], s[0:1]
	;; [unrolled: 1-line block ×3, first 2 shown]
	v_fma_f64 v[6:7], v[56:57], s[4:5], -v[6:7]
	v_mul_f64 v[4:5], v[6:7], v[4:5]
	v_mul_f64 v[6:7], v[36:37], s[0:1]
	;; [unrolled: 1-line block ×3, first 2 shown]
	v_fma_f64 v[6:7], v[28:29], s[4:5], -v[6:7]
	v_mul_f64 v[4:5], v[54:55], v[4:5]
	v_fma_f64 v[0:1], v[6:7], v[0:1], v[4:5]
	v_add3_u32 v4, v68, v97, s6
	v_ashrrev_i32_e32 v5, 31, v4
	v_add_nc_u32_e32 v32, s6, v4
	v_lshlrev_b64 v[5:6], 3, v[4:5]
	v_ashrrev_i32_e32 v33, 31, v32
	v_add_co_u32 v10, vcc_lo, s16, v5
	v_add_co_ci_u32_e64 v11, null, s17, v6, vcc_lo
	v_lshlrev_b64 v[21:22], 3, v[32:33]
	v_add_f64 v[0:1], v[8:9], -v[0:1]
	s_waitcnt vmcnt(1)
	v_add3_u32 v5, v47, v97, s6
	s_waitcnt vmcnt(0)
	v_add3_u32 v18, v46, v97, s6
	v_ashrrev_i32_e32 v6, 31, v5
	v_add_nc_u32_e32 v33, s6, v5
	v_ashrrev_i32_e32 v19, 31, v18
	v_lshlrev_b64 v[6:7], 3, v[5:6]
	v_ashrrev_i32_e32 v34, 31, v33
	v_lshlrev_b64 v[19:20], 3, v[18:19]
	v_add_co_u32 v14, vcc_lo, s16, v6
	v_add3_u32 v6, v67, v97, s6
	v_add_co_ci_u32_e64 v15, null, s17, v7, vcc_lo
	v_lshlrev_b64 v[4:5], 3, v[33:34]
	v_ashrrev_i32_e32 v7, 31, v6
	v_add_nc_u32_e32 v34, s6, v6
	v_lshlrev_b64 v[16:17], 3, v[6:7]
	v_ashrrev_i32_e32 v35, 31, v34
	v_add_co_u32 v16, vcc_lo, s16, v16
	v_lshlrev_b64 v[6:7], 3, v[34:35]
	v_add_nc_u32_e32 v35, s6, v18
	v_add_co_ci_u32_e64 v17, null, s17, v17, vcc_lo
	v_add_co_u32 v19, vcc_lo, s16, v19
	v_add_co_ci_u32_e64 v20, null, s17, v20, vcc_lo
	v_add_co_u32 v21, vcc_lo, s16, v21
	v_ashrrev_i32_e32 v36, 31, v35
	v_add_co_ci_u32_e64 v22, null, s17, v22, vcc_lo
	v_add_co_u32 v4, vcc_lo, s16, v4
	v_add_co_ci_u32_e64 v5, null, s17, v5, vcc_lo
	v_add_co_u32 v23, vcc_lo, s16, v6
	v_add_co_ci_u32_e64 v24, null, s17, v7, vcc_lo
	v_lshlrev_b64 v[6:7], 3, v[35:36]
	v_add_co_u32 v25, vcc_lo, s16, v6
	v_add_co_ci_u32_e64 v26, null, s17, v7, vcc_lo
	s_clause 0x3
	global_load_dwordx2 v[6:7], v[21:22], off
	global_load_dwordx2 v[28:29], v[4:5], off
	global_load_dwordx2 v[70:71], v[23:24], off
	global_load_dwordx2 v[36:37], v[25:26], off
	s_waitcnt vmcnt(2)
	v_add_f64 v[4:5], v[6:7], -v[28:29]
	s_waitcnt vmcnt(0)
	v_add_f64 v[21:22], v[70:71], -v[36:37]
	v_mul_f64 v[4:5], v[4:5], s[0:1]
	v_fma_f64 v[4:5], v[21:22], s[4:5], -v[4:5]
	s_clause 0x1
	buffer_load_dword v21, off, s[28:31], 0 offset:440
	buffer_load_dword v22, off, s[28:31], 0 offset:444
	s_clause 0x3
	global_load_dwordx2 v[26:27], v[10:11], off
	global_load_dwordx2 v[76:77], v[14:15], off
	;; [unrolled: 1-line block ×4, first 2 shown]
	s_clause 0x3
	buffer_load_dword v101, off, s[28:31], 0 offset:648
	buffer_load_dword v102, off, s[28:31], 0 offset:652
	buffer_load_dword v103, off, s[28:31], 0 offset:656
	buffer_load_dword v104, off, s[28:31], 0 offset:660
	s_waitcnt vmcnt(6)
	v_add_f64 v[16:17], v[26:27], -v[76:77]
	v_mul_f64 v[21:22], v[21:22], v[120:121]
	s_waitcnt vmcnt(4)
	v_add_f64 v[18:19], v[14:15], -v[10:11]
	v_mul_f64 v[16:17], v[16:17], s[0:1]
	v_mul_f64 v[4:5], v[21:22], v[4:5]
	buffer_load_dword v21, off, s[28:31], 0 offset:132 ; 4-byte Folded Reload
	v_fma_f64 v[16:17], v[18:19], s[4:5], -v[16:17]
	s_waitcnt vmcnt(3)
	v_mul_f64 v[4:5], v[101:102], v[4:5]
	v_mul_f64 v[4:5], v[114:115], v[4:5]
	v_fma_f64 v[18:19], v[44:45], v[16:17], v[4:5]
	s_waitcnt vmcnt(0)
	v_add3_u32 v4, v68, v21, s6
	v_add3_u32 v20, v47, v21, s6
	v_ashrrev_i32_e32 v5, 31, v4
	v_add_nc_u32_e32 v42, s6, v4
	v_lshlrev_b64 v[16:17], 3, v[4:5]
	v_mov_b32_e32 v5, v21
	v_ashrrev_i32_e32 v43, 31, v42
	v_ashrrev_i32_e32 v21, 31, v20
	v_add3_u32 v23, v67, v5, s6
	v_add3_u32 v30, v46, v5, s6
	v_lshlrev_b64 v[4:5], 3, v[42:43]
	v_add_nc_u32_e32 v43, s6, v20
	v_lshlrev_b64 v[21:22], 3, v[20:21]
	v_ashrrev_i32_e32 v24, 31, v23
	v_ashrrev_i32_e32 v31, 31, v30
	v_add_co_u32 v16, vcc_lo, s16, v16
	v_ashrrev_i32_e32 v44, 31, v43
	v_lshlrev_b64 v[24:25], 3, v[23:24]
	v_lshlrev_b64 v[38:39], 3, v[30:31]
	v_add_co_ci_u32_e64 v17, null, s17, v17, vcc_lo
	v_add_co_u32 v21, vcc_lo, s16, v21
	v_add_co_ci_u32_e64 v22, null, s17, v22, vcc_lo
	v_add_co_u32 v24, vcc_lo, s16, v24
	v_lshlrev_b64 v[44:45], 3, v[43:44]
	v_add_co_ci_u32_e64 v25, null, s17, v25, vcc_lo
	v_add_co_u32 v38, vcc_lo, s16, v38
	v_add_co_ci_u32_e64 v39, null, s17, v39, vcc_lo
	v_add_co_u32 v4, vcc_lo, s16, v4
	;; [unrolled: 2-line block ×3, first 2 shown]
	v_add_nc_u32_e32 v44, s6, v23
	v_add_co_ci_u32_e64 v55, null, s17, v45, vcc_lo
	v_ashrrev_i32_e32 v45, 31, v44
	v_lshlrev_b64 v[56:57], 3, v[44:45]
	v_add_co_u32 v58, vcc_lo, s16, v56
	v_add_nc_u32_e32 v56, s6, v30
	v_add_co_ci_u32_e64 v59, null, s17, v57, vcc_lo
	v_ashrrev_i32_e32 v57, 31, v56
	v_lshlrev_b64 v[30:31], 3, v[56:57]
	v_add_co_u32 v30, vcc_lo, s16, v30
	v_add_co_ci_u32_e64 v31, null, s17, v31, vcc_lo
	s_clause 0x3
	global_load_dwordx2 v[108:109], v[4:5], off
	global_load_dwordx2 v[95:96], v[54:55], off
	;; [unrolled: 1-line block ×4, first 2 shown]
	s_waitcnt vmcnt(3)
	v_add_f64 v[6:7], v[6:7], -v[108:109]
	s_waitcnt vmcnt(2)
	v_add_f64 v[4:5], v[108:109], -v[95:96]
	v_add_f64 v[28:29], v[28:29], -v[95:96]
	s_waitcnt vmcnt(0)
	v_add_f64 v[30:31], v[86:87], -v[78:79]
	v_add_f64 v[36:37], v[36:37], -v[78:79]
	v_mul_f64 v[6:7], v[6:7], s[0:1]
	v_mul_f64 v[4:5], v[4:5], s[0:1]
	;; [unrolled: 1-line block ×4, first 2 shown]
	v_fma_f64 v[4:5], v[30:31], s[4:5], -v[4:5]
	s_clause 0x1
	buffer_load_dword v30, off, s[28:31], 0 offset:400
	buffer_load_dword v31, off, s[28:31], 0 offset:404
	s_clause 0x3
	global_load_dwordx2 v[110:111], v[16:17], off
	global_load_dwordx2 v[97:98], v[21:22], off
	;; [unrolled: 1-line block ×4, first 2 shown]
	s_waitcnt vmcnt(3)
	v_add_f64 v[26:27], v[26:27], -v[110:111]
	s_waitcnt vmcnt(2)
	v_add_f64 v[16:17], v[110:111], -v[97:98]
	v_mul_f64 v[30:31], v[30:31], v[118:119]
	s_waitcnt vmcnt(0)
	v_add_f64 v[24:25], v[22:23], -v[20:21]
	v_add_f64 v[14:15], v[14:15], -v[22:23]
	;; [unrolled: 1-line block ×3, first 2 shown]
	v_mul_f64 v[26:27], v[26:27], s[0:1]
	v_mul_f64 v[16:17], v[16:17], s[0:1]
	v_mul_f64 v[4:5], v[30:31], v[4:5]
	buffer_load_dword v30, off, s[28:31], 0 offset:368 ; 4-byte Folded Reload
	v_mul_f64 v[14:15], v[14:15], s[0:1]
	v_mul_f64 v[20:21], v[20:21], s[0:1]
	v_fma_f64 v[16:17], v[24:25], s[4:5], -v[16:17]
	v_mul_f64 v[4:5], v[101:102], v[4:5]
	v_mul_f64 v[4:5], v[114:115], v[4:5]
	v_fma_f64 v[24:25], v[12:13], v[16:17], v[4:5]
	s_waitcnt vmcnt(0)
	v_add3_u32 v4, v68, v30, s6
	v_ashrrev_i32_e32 v5, 31, v4
	v_lshlrev_b64 v[12:13], 3, v[4:5]
	v_mov_b32_e32 v5, v30
	v_add_co_u32 v16, vcc_lo, s16, v12
	v_add3_u32 v12, v47, v30, s6
	v_add3_u32 v38, v67, v5, s6
	;; [unrolled: 1-line block ×3, first 2 shown]
	v_add_co_ci_u32_e64 v17, null, s17, v13, vcc_lo
	v_ashrrev_i32_e32 v13, 31, v12
	v_ashrrev_i32_e32 v39, 31, v38
	v_ashrrev_i32_e32 v58, 31, v57
	v_add_nc_u32_e32 v64, s6, v38
	v_lshlrev_b64 v[30:31], 3, v[12:13]
	v_lshlrev_b64 v[54:55], 3, v[38:39]
	v_lshlrev_b64 v[58:59], 3, v[57:58]
	v_ashrrev_i32_e32 v65, 31, v64
	v_add_co_u32 v30, vcc_lo, s16, v30
	v_add_co_ci_u32_e64 v31, null, s17, v31, vcc_lo
	v_add_co_u32 v54, vcc_lo, s16, v54
	v_add_co_ci_u32_e64 v55, null, s17, v55, vcc_lo
	;; [unrolled: 2-line block ×3, first 2 shown]
	v_add_nc_u32_e32 v59, s6, v4
	v_lshlrev_b64 v[38:39], 3, v[64:65]
	v_add_nc_u32_e32 v65, s6, v57
	v_ashrrev_i32_e32 v60, 31, v59
	v_ashrrev_i32_e32 v66, 31, v65
	v_lshlrev_b64 v[4:5], 3, v[59:60]
	v_add_nc_u32_e32 v60, s6, v12
	v_lshlrev_b64 v[57:58], 3, v[65:66]
	v_ashrrev_i32_e32 v61, 31, v60
	v_add_co_u32 v4, vcc_lo, s16, v4
	v_add_co_ci_u32_e64 v5, null, s17, v5, vcc_lo
	v_lshlrev_b64 v[12:13], 3, v[60:61]
	v_add_co_u32 v12, vcc_lo, s16, v12
	v_add_co_ci_u32_e64 v13, null, s17, v13, vcc_lo
	v_add_co_u32 v38, vcc_lo, s16, v38
	v_add_co_ci_u32_e64 v39, null, s17, v39, vcc_lo
	;; [unrolled: 2-line block ×3, first 2 shown]
	s_clause 0x3
	global_load_dwordx2 v[99:100], v[4:5], off
	global_load_dwordx2 v[82:83], v[12:13], off
	;; [unrolled: 1-line block ×4, first 2 shown]
	s_waitcnt vmcnt(2)
	v_add_f64 v[4:5], v[99:100], -v[82:83]
	s_waitcnt vmcnt(0)
	v_add_f64 v[38:39], v[74:75], -v[12:13]
	v_mul_f64 v[4:5], v[4:5], s[0:1]
	v_fma_f64 v[4:5], v[38:39], s[4:5], -v[4:5]
	s_clause 0x1
	buffer_load_dword v38, off, s[28:31], 0 offset:372
	buffer_load_dword v39, off, s[28:31], 0 offset:376
	s_waitcnt vmcnt(0)
	v_mul_f64 v[38:39], v[38:39], v[48:49]
	v_mul_f64 v[4:5], v[38:39], v[4:5]
	s_clause 0x3
	global_load_dwordx2 v[80:81], v[16:17], off
	global_load_dwordx2 v[90:91], v[30:31], off
	;; [unrolled: 1-line block ×4, first 2 shown]
	buffer_load_dword v45, off, s[28:31], 0 offset:128 ; 4-byte Folded Reload
	v_mul_f64 v[4:5], v[101:102], v[4:5]
	v_mul_f64 v[4:5], v[114:115], v[4:5]
	s_waitcnt vmcnt(3)
	v_add_f64 v[16:17], v[80:81], -v[90:91]
	s_waitcnt vmcnt(1)
	v_add_f64 v[54:55], v[38:39], -v[30:31]
	s_waitcnt vmcnt(0)
	v_add3_u32 v66, v67, v45, s6
	v_add3_u32 v72, v46, v45, s6
	v_ashrrev_i32_e32 v67, 31, v66
	v_ashrrev_i32_e32 v73, 31, v72
	v_lshlrev_b64 v[61:62], 3, v[66:67]
	v_add_nc_u32_e32 v66, s6, v66
	v_ashrrev_i32_e32 v67, 31, v66
	v_mul_f64 v[16:17], v[16:17], s[0:1]
	v_lshlrev_b64 v[88:89], 3, v[66:67]
	v_fma_f64 v[16:17], v[54:55], s[4:5], -v[16:17]
	v_add3_u32 v54, v47, v45, s6
	v_ashrrev_i32_e32 v55, 31, v54
	v_lshlrev_b64 v[57:58], 3, v[54:55]
	v_fma_f64 v[16:17], v[40:41], v[16:17], v[4:5]
	v_add3_u32 v4, v68, v45, s6
	v_ashrrev_i32_e32 v5, 31, v4
	v_lshlrev_b64 v[40:41], 3, v[4:5]
	v_add_co_u32 v40, vcc_lo, s16, v40
	v_add_co_ci_u32_e64 v41, null, s17, v41, vcc_lo
	v_add_co_u32 v57, vcc_lo, s16, v57
	v_add_co_ci_u32_e64 v58, null, s17, v58, vcc_lo
	;; [unrolled: 2-line block ×3, first 2 shown]
	v_lshlrev_b64 v[61:62], 3, v[72:73]
	v_add_nc_u32_e32 v72, s6, v72
	v_add_co_u32 v84, vcc_lo, s16, v61
	v_add_nc_u32_e32 v61, s6, v4
	v_add_co_ci_u32_e64 v85, null, s17, v62, vcc_lo
	v_ashrrev_i32_e32 v73, 31, v72
	v_ashrrev_i32_e32 v62, 31, v61
	v_lshlrev_b64 v[92:93], 3, v[72:73]
	v_lshlrev_b64 v[4:5], 3, v[61:62]
	v_add_nc_u32_e32 v62, s6, v54
	v_ashrrev_i32_e32 v63, 31, v62
	v_add_co_u32 v4, vcc_lo, s16, v4
	v_add_co_ci_u32_e64 v5, null, s17, v5, vcc_lo
	v_lshlrev_b64 v[54:55], 3, v[62:63]
	v_add_co_u32 v54, vcc_lo, s16, v54
	v_add_co_ci_u32_e64 v55, null, s17, v55, vcc_lo
	v_add_co_u32 v88, vcc_lo, s16, v88
	v_add_co_ci_u32_e64 v89, null, s17, v89, vcc_lo
	;; [unrolled: 2-line block ×3, first 2 shown]
	s_clause 0x3
	global_load_dwordx2 v[106:107], v[4:5], off
	global_load_dwordx2 v[112:113], v[54:55], off
	global_load_dwordx2 v[88:89], v[88:89], off
	global_load_dwordx2 v[92:93], v[92:93], off
	s_clause 0x1
	buffer_load_dword v45, off, s[28:31], 0 offset:328
	buffer_load_dword v46, off, s[28:31], 0 offset:332
	s_waitcnt vmcnt(4)
	v_add_f64 v[4:5], v[106:107], -v[112:113]
	s_waitcnt vmcnt(2)
	v_add_f64 v[54:55], v[88:89], -v[92:93]
	v_add_f64 v[12:13], v[12:13], -v[92:93]
	v_mul_f64 v[4:5], v[4:5], s[0:1]
	v_fma_f64 v[12:13], v[12:13], s[4:5], -v[36:37]
	v_fma_f64 v[4:5], v[54:55], s[4:5], -v[4:5]
	s_waitcnt vmcnt(0)
	v_mul_f64 v[54:55], v[45:46], v[126:127]
	v_mul_f64 v[4:5], v[54:55], v[4:5]
	s_clause 0x3
	global_load_dwordx2 v[40:41], v[40:41], off
	global_load_dwordx2 v[116:117], v[57:58], off
	;; [unrolled: 1-line block ×4, first 2 shown]
	buffer_load_dword v45, off, s[28:31], 0 offset:244 ; 4-byte Folded Reload
	v_mul_f64 v[4:5], v[101:102], v[4:5]
	v_mul_f64 v[4:5], v[114:115], v[4:5]
	s_waitcnt vmcnt(3)
	v_add_f64 v[67:68], v[40:41], -v[116:117]
	v_add_f64 v[40:41], v[80:81], -v[40:41]
	s_waitcnt vmcnt(1)
	v_add_f64 v[84:85], v[57:58], -v[54:55]
	v_add_f64 v[80:81], v[99:100], -v[106:107]
	;; [unrolled: 1-line block ×4, first 2 shown]
	v_mul_f64 v[67:68], v[67:68], s[0:1]
	v_fma_f64 v[26:27], v[40:41], s[4:5], -v[26:27]
	v_fma_f64 v[6:7], v[80:81], s[4:5], -v[6:7]
	v_add_f64 v[80:81], v[82:83], -v[112:113]
	v_fma_f64 v[14:15], v[22:23], s[4:5], -v[14:15]
	v_fma_f64 v[20:21], v[30:31], s[4:5], -v[20:21]
	v_fma_f64 v[67:68], v[84:85], s[4:5], -v[67:68]
	v_fma_f64 v[28:29], v[80:81], s[4:5], -v[28:29]
	v_fma_f64 v[4:5], v[52:53], v[67:68], v[4:5]
	s_waitcnt vmcnt(0)
	v_add_nc_u32_e32 v67, s7, v45
	s_clause 0x1
	buffer_load_dword v45, off, s[28:31], 0 offset:272
	buffer_load_dword v46, off, s[28:31], 0 offset:276
	v_ashrrev_i32_e32 v68, 31, v67
	v_lshlrev_b64 v[52:53], 3, v[67:68]
	v_add_co_u32 v52, vcc_lo, s22, v52
	v_add_co_ci_u32_e64 v53, null, s23, v53, vcc_lo
	global_load_dwordx2 v[52:53], v[52:53], off
	s_waitcnt vmcnt(2)
	v_add_co_u32 v68, vcc_lo, s22, v45
	s_waitcnt vmcnt(1)
	v_add_co_ci_u32_e64 v69, null, s23, v46, vcc_lo
	s_clause 0x5
	buffer_load_dword v45, off, s[28:31], 0 offset:236
	buffer_load_dword v46, off, s[28:31], 0 offset:240
	buffer_load_dword v122, off, s[28:31], 0 offset:360
	buffer_load_dword v123, off, s[28:31], 0 offset:364
	buffer_load_dword v40, off, s[28:31], 0 offset:256
	buffer_load_dword v41, off, s[28:31], 0 offset:260
	s_waitcnt vmcnt(4)
	v_mul_f64 v[52:53], v[45:46], v[52:53]
	s_waitcnt vmcnt(2)
	v_mul_f64 v[52:53], v[122:123], v[52:53]
	v_mul_f64 v[6:7], v[6:7], v[52:53]
	v_add_f64 v[52:53], v[76:77], -v[97:98]
	v_add_f64 v[76:77], v[90:91], -v[116:117]
	s_waitcnt vmcnt(0)
	v_mul_f64 v[6:7], v[40:41], v[6:7]
	global_load_dwordx2 v[40:41], v[68:69], off
	s_clause 0x1
	buffer_load_dword v106, off, s[28:31], 0 offset:344
	buffer_load_dword v107, off, s[28:31], 0 offset:348
	v_mul_f64 v[6:7], v[114:115], v[6:7]
	s_waitcnt vmcnt(0)
	v_mul_f64 v[40:41], v[106:107], v[40:41]
	v_mul_f64 v[40:41], v[122:123], v[40:41]
	v_fma_f64 v[26:27], v[26:27], v[40:41], v[6:7]
	s_clause 0x2
	buffer_load_dword v6, off, s[28:31], 0 offset:224
	buffer_load_dword v40, off, s[28:31], 0 offset:216
	;; [unrolled: 1-line block ×3, first 2 shown]
	s_waitcnt vmcnt(2)
	v_add_nc_u32_e32 v68, s7, v6
	v_ashrrev_i32_e32 v69, 31, v68
	v_lshlrev_b64 v[6:7], 3, v[68:69]
	v_add_co_u32 v6, vcc_lo, s22, v6
	v_add_co_ci_u32_e64 v7, null, s23, v7, vcc_lo
	s_waitcnt vmcnt(1)
	v_add_co_u32 v40, vcc_lo, s22, v40
	s_waitcnt vmcnt(0)
	v_add_co_ci_u32_e64 v41, null, s23, v41, vcc_lo
	global_load_dwordx2 v[6:7], v[6:7], off
	s_clause 0x3
	buffer_load_dword v45, off, s[28:31], 0 offset:184
	buffer_load_dword v46, off, s[28:31], 0 offset:188
	buffer_load_dword v108, off, s[28:31], 0 offset:336
	buffer_load_dword v109, off, s[28:31], 0 offset:340
	global_load_dwordx2 v[40:41], v[40:41], off
	s_clause 0x5
	buffer_load_dword v101, off, s[28:31], 0 offset:40
	buffer_load_dword v102, off, s[28:31], 0 offset:44
	;; [unrolled: 1-line block ×6, first 2 shown]
	s_waitcnt vmcnt(9)
	v_mul_f64 v[6:7], v[45:46], v[6:7]
	s_waitcnt vmcnt(4)
	v_mul_f64 v[40:41], v[101:102], v[40:41]
	v_mul_f64 v[6:7], v[108:109], v[6:7]
	;; [unrolled: 1-line block ×5, first 2 shown]
	s_waitcnt vmcnt(2)
	v_mul_f64 v[6:7], v[82:83], v[6:7]
	v_fma_f64 v[28:29], v[76:77], s[4:5], -v[28:29]
	v_mul_f64 v[6:7], v[114:115], v[6:7]
	v_fma_f64 v[28:29], v[28:29], v[40:41], v[6:7]
	buffer_load_dword v6, off, s[28:31], 0 offset:160 ; 4-byte Folded Reload
	v_add_f64 v[40:41], v[70:71], -v[86:87]
	v_add_nc_u32_e32 v71, s6, v72
	v_ashrrev_i32_e32 v72, 31, v71
	v_lshlrev_b64 v[71:72], 3, v[71:72]
	v_mul_f64 v[40:41], v[40:41], s[0:1]
	s_waitcnt vmcnt(0)
	v_add_nc_u32_e32 v52, s7, v6
	v_ashrrev_i32_e32 v53, 31, v52
	v_add_nc_u32_e32 v38, s6, v52
	v_lshlrev_b64 v[6:7], 3, v[52:53]
	v_ashrrev_i32_e32 v39, 31, v38
	v_add_co_u32 v6, vcc_lo, s22, v6
	v_add_co_ci_u32_e64 v7, null, s23, v7, vcc_lo
	v_lshlrev_b64 v[38:39], 3, v[38:39]
	global_load_dwordx2 v[6:7], v[6:7], off
	s_clause 0x3
	buffer_load_dword v69, off, s[28:31], 0 offset:164
	buffer_load_dword v70, off, s[28:31], 0 offset:168
	;; [unrolled: 1-line block ×4, first 2 shown]
	s_waitcnt vmcnt(2)
	v_mul_f64 v[6:7], v[69:70], v[6:7]
	v_add_f64 v[69:70], v[74:75], -v[88:89]
	s_waitcnt vmcnt(0)
	v_mul_f64 v[6:7], v[110:111], v[6:7]
	v_fma_f64 v[40:41], v[69:70], s[4:5], -v[40:41]
	v_mul_f64 v[6:7], v[40:41], v[6:7]
	buffer_load_dword v40, off, s[28:31], 0 offset:172 ; 4-byte Folded Reload
	v_mul_f64 v[6:7], v[103:104], v[6:7]
	v_mul_f64 v[6:7], v[114:115], v[6:7]
	s_waitcnt vmcnt(0)
	v_add_nc_u32_e32 v82, s7, v40
	v_ashrrev_i32_e32 v83, 31, v82
	v_lshlrev_b64 v[40:41], 3, v[82:83]
	v_add_co_u32 v40, vcc_lo, s22, v40
	v_add_co_ci_u32_e64 v41, null, s23, v41, vcc_lo
	global_load_dwordx2 v[40:41], v[40:41], off
	s_clause 0x3
	buffer_load_dword v69, off, s[28:31], 0 offset:152
	buffer_load_dword v70, off, s[28:31], 0 offset:156
	;; [unrolled: 1-line block ×4, first 2 shown]
	s_waitcnt vmcnt(2)
	v_mul_f64 v[40:41], v[69:70], v[40:41]
	s_waitcnt vmcnt(0)
	v_mul_f64 v[36:37], v[103:104], v[40:41]
	s_clause 0x3
	buffer_load_dword v40, off, s[28:31], 0 offset:228
	buffer_load_dword v41, off, s[28:31], 0 offset:232
	;; [unrolled: 1-line block ×4, first 2 shown]
	v_mul_f64 v[12:13], v[12:13], v[36:37]
	v_mul_f64 v[36:37], v[84:85], v[12:13]
	v_add_nc_u32_e32 v12, s6, v67
	v_add_nc_u32_e32 v67, s6, v68
	v_ashrrev_i32_e32 v13, 31, v12
	v_ashrrev_i32_e32 v68, 31, v67
	v_lshlrev_b64 v[12:13], 3, v[12:13]
	v_lshlrev_b64 v[67:68], 3, v[67:68]
	v_add_co_u32 v12, vcc_lo, s22, v12
	v_add_co_ci_u32_e64 v13, null, s23, v13, vcc_lo
	v_add_co_u32 v73, vcc_lo, s22, v67
	v_add_co_ci_u32_e64 v74, null, s23, v68, vcc_lo
	s_waitcnt vmcnt(0)
	v_fma_f64 v[40:41], v[114:115], v[45:46], v[40:41]
	s_clause 0x1
	buffer_load_dword v45, off, s[28:31], 0 offset:264
	buffer_load_dword v46, off, s[28:31], 0 offset:268
	s_waitcnt vmcnt(0)
	v_mul_f64 v[69:70], v[45:46], s[0:1]
	s_clause 0x3
	buffer_load_dword v45, off, s[28:31], 0 offset:296
	buffer_load_dword v46, off, s[28:31], 0 offset:300
	;; [unrolled: 1-line block ×4, first 2 shown]
	s_waitcnt vmcnt(1)
	v_add_co_u32 v67, vcc_lo, s22, v67
	v_fma_f64 v[69:70], v[45:46], s[4:5], -v[69:70]
	s_clause 0x1
	buffer_load_dword v45, off, s[28:31], 0 offset:448
	buffer_load_dword v46, off, s[28:31], 0 offset:452
	s_waitcnt vmcnt(2)
	v_add_co_ci_u32_e64 v68, null, s23, v68, vcc_lo
	v_add_f64 v[40:41], v[40:41], v[69:70]
	s_waitcnt vmcnt(0)
	v_mul_f64 v[50:51], v[124:125], v[45:46]
	s_clause 0x1
	buffer_load_dword v45, off, s[28:31], 0 offset:304
	buffer_load_dword v46, off, s[28:31], 0 offset:308
	v_mul_f64 v[89:90], v[50:51], v[120:121]
	v_add_nc_u32_e32 v50, s6, v32
	v_add_nc_u32_e32 v32, s6, v33
	v_ashrrev_i32_e32 v51, 31, v50
	v_ashrrev_i32_e32 v33, 31, v32
	v_lshlrev_b64 v[50:51], 3, v[50:51]
	v_lshlrev_b64 v[32:33], 3, v[32:33]
	v_add_co_u32 v50, vcc_lo, s16, v50
	v_add_co_ci_u32_e64 v51, null, s17, v51, vcc_lo
	v_add_co_u32 v32, vcc_lo, s16, v32
	v_add_co_ci_u32_e64 v33, null, s17, v33, vcc_lo
	s_waitcnt vmcnt(0)
	v_mul_f64 v[69:70], v[45:46], s[0:1]
	s_clause 0x1
	buffer_load_dword v45, off, s[28:31], 0 offset:312
	buffer_load_dword v46, off, s[28:31], 0 offset:316
	s_waitcnt vmcnt(0)
	v_fma_f64 v[83:84], v[45:46], s[4:5], -v[69:70]
	v_add_nc_u32_e32 v69, s6, v34
	v_add_nc_u32_e32 v34, s6, v35
	s_clause 0x3
	buffer_load_dword v45, off, s[28:31], 0 offset:208
	buffer_load_dword v46, off, s[28:31], 0 offset:212
	;; [unrolled: 1-line block ×4, first 2 shown]
	v_ashrrev_i32_e32 v70, 31, v69
	v_ashrrev_i32_e32 v35, 31, v34
	v_lshlrev_b64 v[69:70], 3, v[69:70]
	v_lshlrev_b64 v[34:35], 3, v[34:35]
	v_add_co_u32 v69, vcc_lo, s16, v69
	v_add_co_ci_u32_e64 v70, null, s17, v70, vcc_lo
	v_add_co_u32 v34, vcc_lo, s16, v34
	v_add_co_ci_u32_e64 v35, null, s17, v35, vcc_lo
	s_clause 0x3
	global_load_dwordx2 v[91:92], v[50:51], off
	global_load_dwordx2 v[77:78], v[32:33], off
	;; [unrolled: 1-line block ×4, first 2 shown]
	s_waitcnt vmcnt(4)
	v_mul_f64 v[45:46], v[75:76], v[45:46]
	v_add_nc_u32_e32 v75, s6, v56
	v_ashrrev_i32_e32 v76, 31, v75
	v_lshlrev_b64 v[75:76], 3, v[75:76]
	s_waitcnt vmcnt(2)
	v_add_f64 v[32:33], v[91:92], -v[77:78]
	s_waitcnt vmcnt(0)
	v_add_f64 v[50:51], v[69:70], -v[34:35]
	v_mul_f64 v[45:46], v[45:46], v[118:119]
	v_mul_f64 v[32:33], v[32:33], s[0:1]
	v_fma_f64 v[93:94], v[50:51], s[4:5], -v[32:33]
	v_add_nc_u32_e32 v32, s6, v42
	v_add_nc_u32_e32 v42, s6, v43
	;; [unrolled: 1-line block ×4, first 2 shown]
	v_ashrrev_i32_e32 v33, 31, v32
	v_ashrrev_i32_e32 v43, 31, v42
	;; [unrolled: 1-line block ×3, first 2 shown]
	v_lshlrev_b64 v[32:33], 3, v[32:33]
	v_lshlrev_b64 v[42:43], 3, v[42:43]
	;; [unrolled: 1-line block ×3, first 2 shown]
	v_add_co_u32 v32, vcc_lo, s16, v32
	v_add_co_ci_u32_e64 v33, null, s17, v33, vcc_lo
	v_add_co_u32 v42, vcc_lo, s16, v42
	v_add_co_ci_u32_e64 v43, null, s17, v43, vcc_lo
	;; [unrolled: 2-line block ×4, first 2 shown]
	s_clause 0x3
	global_load_dwordx2 v[95:96], v[32:33], off
	global_load_dwordx2 v[79:80], v[42:43], off
	;; [unrolled: 1-line block ×4, first 2 shown]
	s_waitcnt vmcnt(3)
	v_add_f64 v[91:92], v[91:92], -v[95:96]
	s_waitcnt vmcnt(2)
	v_add_f64 v[32:33], v[95:96], -v[79:80]
	;; [unrolled: 2-line block ×3, first 2 shown]
	v_add_f64 v[34:35], v[34:35], -v[42:43]
	v_mov_b32_e32 v42, v103
	v_mov_b32_e32 v43, v104
	v_mul_f64 v[32:33], v[32:33], s[0:1]
	v_mul_f64 v[34:35], v[34:35], s[0:1]
	v_fma_f64 v[97:98], v[50:51], s[4:5], -v[32:33]
	s_clause 0x3
	buffer_load_dword v32, off, s[28:31], 0 offset:176
	buffer_load_dword v33, off, s[28:31], 0 offset:180
	;; [unrolled: 1-line block ×4, first 2 shown]
	s_waitcnt vmcnt(0)
	v_mul_f64 v[99:100], v[50:51], v[32:33]
	v_add_nc_u32_e32 v32, s6, v82
	v_ashrrev_i32_e32 v33, 31, v32
	v_lshlrev_b64 v[32:33], 3, v[32:33]
	v_add_co_u32 v50, vcc_lo, s22, v32
	v_add_co_ci_u32_e64 v51, null, s23, v33, vcc_lo
	v_add_f64 v[32:33], v[83:84], v[40:41]
	s_clause 0x3
	buffer_load_dword v40, off, s[28:31], 0 offset:280
	buffer_load_dword v41, off, s[28:31], 0 offset:284
	;; [unrolled: 1-line block ×4, first 2 shown]
	v_mul_f64 v[83:84], v[45:46], v[97:98]
	v_add_nc_u32_e32 v46, s6, v64
	v_ashrrev_i32_e32 v45, 31, v44
	v_mul_f64 v[48:49], v[99:100], v[48:49]
	v_ashrrev_i32_e32 v47, 31, v46
	v_lshlrev_b64 v[44:45], 3, v[44:45]
	v_lshlrev_b64 v[46:47], 3, v[46:47]
	v_fma_f64 v[24:25], v[114:115], v[83:84], v[24:25]
	s_waitcnt vmcnt(0)
	v_add_f64 v[85:86], v[40:41], -v[81:82]
	s_clause 0x3
	buffer_load_dword v40, off, s[28:31], 0 offset:64
	buffer_load_dword v41, off, s[28:31], 0 offset:68
	;; [unrolled: 1-line block ×4, first 2 shown]
	s_waitcnt vmcnt(0)
	v_add_f64 v[87:88], v[40:41], -v[81:82]
	v_mul_f64 v[81:82], v[89:90], v[93:94]
	s_clause 0x3
	buffer_load_dword v63, off, s[28:31], 0 offset:144
	buffer_load_dword v64, off, s[28:31], 0 offset:148
	buffer_load_dword v89, off, s[28:31], 0
	buffer_load_dword v90, off, s[28:31], 0 offset:4
	v_add_nc_u32_e32 v40, s6, v59
	v_add_nc_u32_e32 v59, s6, v65
	;; [unrolled: 1-line block ×3, first 2 shown]
	v_ashrrev_i32_e32 v41, 31, v40
	v_ashrrev_i32_e32 v60, 31, v59
	;; [unrolled: 1-line block ×3, first 2 shown]
	v_lshlrev_b64 v[40:41], 3, v[40:41]
	v_lshlrev_b64 v[59:60], 3, v[59:60]
	;; [unrolled: 1-line block ×3, first 2 shown]
	v_add_co_u32 v40, vcc_lo, s16, v40
	v_add_co_ci_u32_e64 v41, null, s17, v41, vcc_lo
	v_add_co_u32 v44, vcc_lo, s16, v44
	v_add_co_ci_u32_e64 v45, null, s17, v45, vcc_lo
	;; [unrolled: 2-line block ×4, first 2 shown]
	v_fma_f64 v[18:19], v[114:115], v[81:82], v[18:19]
	v_add_f64 v[18:19], v[18:19], -v[24:25]
	s_waitcnt vmcnt(0)
	v_mul_f64 v[89:90], v[89:90], v[63:64]
	s_clause 0x3
	global_load_dwordx2 v[40:41], v[40:41], off
	global_load_dwordx2 v[93:94], v[44:45], off
	;; [unrolled: 1-line block ×5, first 2 shown]
	v_mul_f64 v[89:90], v[89:90], v[126:127]
	s_waitcnt vmcnt(3)
	v_add_f64 v[46:47], v[40:41], -v[93:94]
	s_waitcnt vmcnt(1)
	v_add_f64 v[59:60], v[63:64], -v[44:45]
	s_waitcnt vmcnt(0)
	v_mul_f64 v[97:98], v[106:107], v[12:13]
	v_mul_f64 v[46:47], v[46:47], s[0:1]
	v_fma_f64 v[59:60], v[59:60], s[4:5], -v[46:47]
	v_add_nc_u32_e32 v46, s6, v61
	v_add_nc_u32_e32 v61, s6, v62
	v_ashrrev_i32_e32 v47, 31, v46
	v_ashrrev_i32_e32 v62, 31, v61
	v_lshlrev_b64 v[46:47], 3, v[46:47]
	v_lshlrev_b64 v[61:62], 3, v[61:62]
	v_add_co_u32 v46, vcc_lo, s16, v46
	v_add_co_ci_u32_e64 v47, null, s17, v47, vcc_lo
	v_add_co_u32 v61, vcc_lo, s16, v61
	v_add_co_ci_u32_e64 v62, null, s17, v62, vcc_lo
	;; [unrolled: 2-line block ×4, first 2 shown]
	s_clause 0x3
	global_load_dwordx2 v[46:47], v[46:47], off
	global_load_dwordx2 v[61:62], v[61:62], off
	;; [unrolled: 1-line block ×4, first 2 shown]
	v_add_co_u32 v38, vcc_lo, s22, v38
	v_add_co_ci_u32_e64 v39, null, s23, v39, vcc_lo
	v_mul_f64 v[48:49], v[48:49], v[59:60]
	v_fma_f64 v[16:17], v[114:115], v[48:49], v[16:17]
	s_waitcnt vmcnt(3)
	v_add_f64 v[40:41], v[40:41], -v[46:47]
	s_waitcnt vmcnt(2)
	v_add_f64 v[71:72], v[46:47], -v[61:62]
	global_load_dwordx2 v[46:47], v[73:74], off
	v_add_f64 v[73:74], v[77:78], -v[79:80]
	v_mul_f64 v[77:78], v[91:92], s[0:1]
	s_waitcnt vmcnt(1)
	v_add_f64 v[95:96], v[65:66], -v[12:13]
	v_add_f64 v[12:13], v[44:45], -v[12:13]
	v_mul_f64 v[71:72], v[71:72], s[0:1]
	v_fma_f64 v[40:41], v[40:41], s[4:5], -v[77:78]
	v_fma_f64 v[12:13], v[12:13], s[4:5], -v[34:35]
	v_mul_f64 v[34:35], v[114:115], v[36:37]
	v_fma_f64 v[71:72], v[95:96], s[4:5], -v[71:72]
	v_mul_f64 v[95:96], v[122:123], v[97:98]
	v_mul_f64 v[59:60], v[89:90], v[71:72]
	v_fma_f64 v[4:5], v[114:115], v[59:60], v[4:5]
	v_add_f64 v[4:5], v[16:17], -v[4:5]
	s_waitcnt vmcnt(0)
	v_mul_f64 v[46:47], v[101:102], v[46:47]
	v_mul_f64 v[77:78], v[108:109], v[46:47]
	v_add_f64 v[46:47], v[93:94], -v[61:62]
	v_mul_f64 v[61:62], v[73:74], s[0:1]
	v_fma_f64 v[73:74], v[46:47], s[4:5], -v[61:62]
	s_clause 0x1
	buffer_load_dword v61, off, s[28:31], 0 offset:56
	buffer_load_dword v62, off, s[28:31], 0 offset:60
	v_mul_f64 v[46:47], v[85:86], s[0:1]
	v_mul_f64 v[8:9], v[73:74], v[77:78]
	v_fma_f64 v[46:47], v[87:88], s[4:5], -v[46:47]
	v_fma_f64 v[8:9], v[114:115], v[8:9], v[28:29]
	s_waitcnt vmcnt(0)
	v_add_f64 v[2:3], v[61:62], -v[2:3]
	v_mul_f64 v[61:62], v[40:41], v[95:96]
	s_clause 0x1
	buffer_load_dword v40, off, s[28:31], 0 offset:120
	buffer_load_dword v41, off, s[28:31], 0 offset:124
	s_clause 0x1
	global_load_dwordx2 v[52:53], v[67:68], off
	global_load_dwordx2 v[38:39], v[38:39], off
	s_clause 0x1
	buffer_load_dword v56, off, s[28:31], 0 offset:24
	buffer_load_dword v57, off, s[28:31], 0 offset:28
	v_mov_b32_e32 v67, v110
	v_mov_b32_e32 v68, v111
	v_mul_f64 v[2:3], v[2:3], s[0:1]
	v_fma_f64 v[24:25], v[114:115], v[61:62], v[26:27]
	v_fma_f64 v[0:1], v[0:1], s[4:5], -v[2:3]
	v_mul_f64 v[2:3], v[18:19], s[0:1]
	v_add_f64 v[8:9], v[24:25], -v[8:9]
	v_fma_f64 v[2:3], v[4:5], s[4:5], -v[2:3]
	v_mul_f64 v[4:5], v[8:9], s[0:1]
	s_waitcnt vmcnt(5)
	v_add_co_u32 v40, vcc_lo, s22, v40
	s_waitcnt vmcnt(4)
	v_add_co_ci_u32_e64 v41, null, s23, v41, vcc_lo
	s_waitcnt vmcnt(0)
	v_mul_f64 v[52:53], v[56:57], v[52:53]
	v_mul_f64 v[38:39], v[56:57], v[38:39]
	v_add_f64 v[56:57], v[69:70], -v[75:76]
	s_clause 0x1
	global_load_dwordx2 v[40:41], v[40:41], off
	global_load_dwordx2 v[50:51], v[50:51], off
	v_mul_f64 v[22:23], v[67:68], v[52:53]
	v_add_f64 v[52:53], v[63:64], -v[65:66]
	v_mul_f64 v[10:11], v[56:57], s[0:1]
	v_mul_f64 v[38:39], v[67:68], v[38:39]
	v_fma_f64 v[6:7], v[14:15], v[22:23], v[6:7]
	v_fma_f64 v[10:11], v[52:53], s[4:5], -v[10:11]
	s_clause 0x1
	buffer_load_dword v52, off, s[28:31], 0 offset:16
	buffer_load_dword v53, off, s[28:31], 0 offset:20
	v_mul_f64 v[10:11], v[10:11], v[38:39]
	v_fma_f64 v[6:7], v[114:115], v[10:11], v[6:7]
	s_waitcnt vmcnt(0)
	v_mul_f64 v[40:41], v[52:53], v[40:41]
	v_mul_f64 v[50:51], v[52:53], v[50:51]
	;; [unrolled: 1-line block ×4, first 2 shown]
	s_clause 0x1
	buffer_load_dword v42, off, s[28:31], 0 offset:88
	buffer_load_dword v43, off, s[28:31], 0 offset:92
	v_fma_f64 v[14:15], v[20:21], v[30:31], v[34:35]
	v_mul_f64 v[12:13], v[12:13], v[40:41]
	v_add_f64 v[20:21], v[32:33], v[46:47]
	v_fma_f64 v[10:11], v[114:115], v[12:13], v[14:15]
	v_add_f64 v[0:1], v[20:21], v[0:1]
	v_add_f64 v[6:7], v[6:7], -v[10:11]
	v_add_f64 v[0:1], v[0:1], v[2:3]
	v_fma_f64 v[2:3], v[6:7], s[4:5], -v[4:5]
	v_add_f64 v[0:1], v[0:1], v[2:3]
	v_mul_f64 v[0:1], s[14:15], v[0:1]
	s_waitcnt vmcnt(1)
	v_add_co_u32 v42, vcc_lo, s2, v42
	s_waitcnt vmcnt(0)
	v_add_co_ci_u32_e64 v43, null, s3, v43, vcc_lo
	global_load_dwordx2 v[26:27], v[42:43], off
	s_clause 0x5
	buffer_load_dword v2, off, s[28:31], 0 offset:96
	buffer_load_dword v3, off, s[28:31], 0 offset:100
	buffer_load_dword v4, off, s[28:31], 0 offset:104
	buffer_load_dword v5, off, s[28:31], 0 offset:108
	buffer_load_dword v6, off, s[28:31], 0 offset:112
	buffer_load_dword v7, off, s[28:31], 0 offset:116
	s_waitcnt vmcnt(0)
	v_div_fixup_f64 v[2:3], v[6:7], v[4:5], v[2:3]
	v_mul_f64 v[0:1], v[2:3], v[0:1]
	v_fma_f64 v[0:1], s[12:13], v[26:27], v[0:1]
	global_store_dwordx2 v[42:43], v[0:1], off
.LBB2_2:
	s_endpgm
	.section	.rodata,"a",@progbits
	.p2align	6, 0x0
	.amdhsa_kernel _Z7kernel3iiiiiiiiiiiiddPKdS0_S0_S0_S0_PdS0_S0_S0_S0_S0_S0_S0_
		.amdhsa_group_segment_fixed_size 0
		.amdhsa_private_segment_fixed_size 676
		.amdhsa_kernarg_size 424
		.amdhsa_user_sgpr_count 6
		.amdhsa_user_sgpr_private_segment_buffer 1
		.amdhsa_user_sgpr_dispatch_ptr 0
		.amdhsa_user_sgpr_queue_ptr 0
		.amdhsa_user_sgpr_kernarg_segment_ptr 1
		.amdhsa_user_sgpr_dispatch_id 0
		.amdhsa_user_sgpr_flat_scratch_init 0
		.amdhsa_user_sgpr_private_segment_size 0
		.amdhsa_wavefront_size32 1
		.amdhsa_uses_dynamic_stack 0
		.amdhsa_system_sgpr_private_segment_wavefront_offset 1
		.amdhsa_system_sgpr_workgroup_id_x 1
		.amdhsa_system_sgpr_workgroup_id_y 1
		.amdhsa_system_sgpr_workgroup_id_z 1
		.amdhsa_system_sgpr_workgroup_info 0
		.amdhsa_system_vgpr_workitem_id 2
		.amdhsa_next_free_vgpr 128
		.amdhsa_next_free_sgpr 32
		.amdhsa_reserve_vcc 1
		.amdhsa_reserve_flat_scratch 0
		.amdhsa_float_round_mode_32 0
		.amdhsa_float_round_mode_16_64 0
		.amdhsa_float_denorm_mode_32 3
		.amdhsa_float_denorm_mode_16_64 3
		.amdhsa_dx10_clamp 1
		.amdhsa_ieee_mode 1
		.amdhsa_fp16_overflow 0
		.amdhsa_workgroup_processor_mode 1
		.amdhsa_memory_ordered 1
		.amdhsa_forward_progress 1
		.amdhsa_shared_vgpr_count 0
		.amdhsa_exception_fp_ieee_invalid_op 0
		.amdhsa_exception_fp_denorm_src 0
		.amdhsa_exception_fp_ieee_div_zero 0
		.amdhsa_exception_fp_ieee_overflow 0
		.amdhsa_exception_fp_ieee_underflow 0
		.amdhsa_exception_fp_ieee_inexact 0
		.amdhsa_exception_int_div_zero 0
	.end_amdhsa_kernel
	.text
.Lfunc_end2:
	.size	_Z7kernel3iiiiiiiiiiiiddPKdS0_S0_S0_S0_PdS0_S0_S0_S0_S0_S0_S0_, .Lfunc_end2-_Z7kernel3iiiiiiiiiiiiddPKdS0_S0_S0_S0_PdS0_S0_S0_S0_S0_S0_S0_
                                        ; -- End function
	.set _Z7kernel3iiiiiiiiiiiiddPKdS0_S0_S0_S0_PdS0_S0_S0_S0_S0_S0_S0_.num_vgpr, 128
	.set _Z7kernel3iiiiiiiiiiiiddPKdS0_S0_S0_S0_PdS0_S0_S0_S0_S0_S0_S0_.num_agpr, 0
	.set _Z7kernel3iiiiiiiiiiiiddPKdS0_S0_S0_S0_PdS0_S0_S0_S0_S0_S0_S0_.numbered_sgpr, 32
	.set _Z7kernel3iiiiiiiiiiiiddPKdS0_S0_S0_S0_PdS0_S0_S0_S0_S0_S0_S0_.num_named_barrier, 0
	.set _Z7kernel3iiiiiiiiiiiiddPKdS0_S0_S0_S0_PdS0_S0_S0_S0_S0_S0_S0_.private_seg_size, 676
	.set _Z7kernel3iiiiiiiiiiiiddPKdS0_S0_S0_S0_PdS0_S0_S0_S0_S0_S0_S0_.uses_vcc, 1
	.set _Z7kernel3iiiiiiiiiiiiddPKdS0_S0_S0_S0_PdS0_S0_S0_S0_S0_S0_S0_.uses_flat_scratch, 0
	.set _Z7kernel3iiiiiiiiiiiiddPKdS0_S0_S0_S0_PdS0_S0_S0_S0_S0_S0_S0_.has_dyn_sized_stack, 0
	.set _Z7kernel3iiiiiiiiiiiiddPKdS0_S0_S0_S0_PdS0_S0_S0_S0_S0_S0_S0_.has_recursion, 0
	.set _Z7kernel3iiiiiiiiiiiiddPKdS0_S0_S0_S0_PdS0_S0_S0_S0_S0_S0_S0_.has_indirect_call, 0
	.section	.AMDGPU.csdata,"",@progbits
; Kernel info:
; codeLenInByte = 15924
; TotalNumSgprs: 34
; NumVgprs: 128
; ScratchSize: 676
; MemoryBound: 0
; FloatMode: 240
; IeeeMode: 1
; LDSByteSize: 0 bytes/workgroup (compile time only)
; SGPRBlocks: 0
; VGPRBlocks: 15
; NumSGPRsForWavesPerEU: 34
; NumVGPRsForWavesPerEU: 128
; Occupancy: 8
; WaveLimiterHint : 0
; COMPUTE_PGM_RSRC2:SCRATCH_EN: 1
; COMPUTE_PGM_RSRC2:USER_SGPR: 6
; COMPUTE_PGM_RSRC2:TRAP_HANDLER: 0
; COMPUTE_PGM_RSRC2:TGID_X_EN: 1
; COMPUTE_PGM_RSRC2:TGID_Y_EN: 1
; COMPUTE_PGM_RSRC2:TGID_Z_EN: 1
; COMPUTE_PGM_RSRC2:TIDIG_COMP_CNT: 2
	.text
	.protected	_Z7kernel4iiiiiiiiiiiiddPKdS0_S0_S0_S0_PdS0_S0_S0_S0_S0_S0_S0_ ; -- Begin function _Z7kernel4iiiiiiiiiiiiddPKdS0_S0_S0_S0_PdS0_S0_S0_S0_S0_S0_S0_
	.globl	_Z7kernel4iiiiiiiiiiiiddPKdS0_S0_S0_S0_PdS0_S0_S0_S0_S0_S0_S0_
	.p2align	8
	.type	_Z7kernel4iiiiiiiiiiiiddPKdS0_S0_S0_S0_PdS0_S0_S0_S0_S0_S0_S0_,@function
_Z7kernel4iiiiiiiiiiiiddPKdS0_S0_S0_S0_PdS0_S0_S0_S0_S0_S0_S0_: ; @_Z7kernel4iiiiiiiiiiiiddPKdS0_S0_S0_S0_PdS0_S0_S0_S0_S0_S0_S0_
; %bb.0:
	s_mov_b64 s[30:31], s[2:3]
	s_mov_b64 s[28:29], s[0:1]
	s_clause 0x1
	s_load_dwordx2 s[0:1], s[4:5], 0xb4
	s_load_dwordx8 s[12:19], s[4:5], 0x0
	s_add_u32 s28, s28, s9
	s_addc_u32 s29, s29, 0
	s_waitcnt lgkmcnt(0)
	s_and_b32 s2, s0, 0xffff
	s_lshr_b32 s0, s0, 16
	s_and_b32 s1, s1, 0xffff
	s_mul_i32 s6, s6, s2
	s_mul_i32 s7, s7, s0
	;; [unrolled: 1-line block ×3, first 2 shown]
	v_add3_u32 v4, s6, s12, v0
	v_add3_u32 v3, s7, s14, v1
	;; [unrolled: 1-line block ×3, first 2 shown]
	v_cmp_gt_i32_e32 vcc_lo, s13, v4
	v_cmp_gt_i32_e64 s0, s15, v3
	v_cmp_gt_i32_e64 s1, s17, v2
	s_and_b32 s0, vcc_lo, s0
	s_and_b32 s0, s0, s1
	s_and_saveexec_b32 s1, s0
	s_cbranch_execz .LBB3_2
; %bb.1:
	s_clause 0x3
	s_load_dwordx4 s[24:27], s[4:5], 0x98
	s_load_dwordx4 s[20:23], s[4:5], 0x60
	s_load_dwordx8 s[8:15], s[4:5], 0x40
	s_load_dwordx8 s[0:7], s[4:5], 0x20
	v_subrev_nc_u32_e32 v0, s18, v4
	v_ashrrev_i32_e32 v1, 31, v0
	v_lshlrev_b64 v[0:1], 3, v[0:1]
	s_waitcnt lgkmcnt(0)
	v_add_co_u32 v0, vcc_lo, s24, v0
	v_add_co_ci_u32_e64 v1, null, s25, v1, vcc_lo
	s_sub_i32 s25, s19, s18
	s_clause 0x2
	global_load_dwordx2 v[38:39], v[0:1], off offset:16
	global_load_dwordx4 v[34:37], v[0:1], off
	global_load_dwordx4 v[68:71], v[0:1], off offset:-16
	s_not_b32 s16, s25
	v_subrev_nc_u32_e32 v0, s0, v3
	s_mul_i32 s16, s0, s16
	s_sub_i32 s0, s1, s0
	s_add_i32 s25, s25, 1
	s_add_i32 s24, s0, 1
	v_ashrrev_i32_e32 v1, 31, v0
	s_mul_i32 s24, s24, s25
	v_mul_lo_u32 v8, v3, s25
	s_mul_i32 s0, s24, s2
	v_mul_lo_u32 v14, v2, s24
	s_add_i32 s0, s18, s0
	v_lshlrev_b64 v[0:1], 3, v[0:1]
	s_sub_i32 s0, s16, s0
	s_sub_i32 s1, s3, s2
	v_add_nc_u32_e32 v7, s0, v4
	s_add_i32 s16, s1, 1
	v_add_nc_u32_e32 v3, -2, v3
	v_add_co_u32 v0, vcc_lo, s26, v0
	v_add_co_ci_u32_e64 v1, null, s27, v1, vcc_lo
	v_add_nc_u32_e32 v33, v8, v7
	s_clause 0x2
	global_load_dwordx2 v[31:32], v[0:1], off offset:16
	global_load_dwordx4 v[42:45], v[0:1], off
	global_load_dwordx4 v[64:67], v[0:1], off offset:-16
	v_add3_u32 v15, v14, v8, s0
	v_add_nc_u32_e32 v0, v33, v14
	s_mul_i32 s16, s16, s24
	v_mul_lo_u32 v3, v3, s25
	s_sub_i32 s0, s0, s16
	s_mul_i32 s17, s16, 3
	v_ashrrev_i32_e32 v1, 31, v0
	v_add_nc_u32_e32 v30, s0, v8
	s_lshl_b32 s19, s16, 1
	v_add_nc_u32_e32 v7, v14, v7
	s_mov_b32 s1, 0x3fc55555
	v_lshlrev_b64 v[0:1], 3, v[0:1]
	v_add_nc_u32_e32 v2, -2, v2
	s_mov_b32 s3, 0x3fe55555
	s_lshl_b32 s18, s16, 2
	v_add_co_u32 v9, vcc_lo, s20, v0
	v_add_co_ci_u32_e64 v10, null, s21, v1, vcc_lo
	global_load_dwordx2 v[9:10], v[9:10], off
	s_waitcnt vmcnt(2)
	v_mul_f64 v[5:6], v[34:35], v[42:43]
	s_waitcnt vmcnt(0)
	v_div_scale_f64 v[16:17], null, v[9:10], v[9:10], v[5:6]
	v_rcp_f64_e32 v[18:19], v[16:17]
	v_fma_f64 v[20:21], -v[16:17], v[18:19], 1.0
	v_fma_f64 v[18:19], v[18:19], v[20:21], v[18:19]
	v_fma_f64 v[20:21], -v[16:17], v[18:19], 1.0
	v_fma_f64 v[18:19], v[18:19], v[20:21], v[18:19]
	v_div_scale_f64 v[20:21], vcc_lo, v[5:6], v[9:10], v[5:6]
	v_mul_f64 v[22:23], v[20:21], v[18:19]
	v_fma_f64 v[16:17], -v[16:17], v[22:23], v[20:21]
	v_div_fmas_f64 v[16:17], v[16:17], v[18:19], v[22:23]
	v_div_fixup_f64 v[5:6], v[16:17], v[9:10], v[5:6]
	buffer_store_dword v5, off, s[28:31], 0 ; 4-byte Folded Spill
	buffer_store_dword v6, off, s[28:31], 0 offset:4 ; 4-byte Folded Spill
	v_div_scale_f64 v[5:6], null, v[42:43], v[42:43], 1.0
	v_rcp_f64_e32 v[9:10], v[5:6]
	v_fma_f64 v[16:17], -v[5:6], v[9:10], 1.0
	v_fma_f64 v[9:10], v[9:10], v[16:17], v[9:10]
	v_fma_f64 v[16:17], -v[5:6], v[9:10], 1.0
	v_fma_f64 v[9:10], v[9:10], v[16:17], v[9:10]
	v_div_scale_f64 v[16:17], vcc_lo, 1.0, v[42:43], 1.0
	v_mul_f64 v[18:19], v[16:17], v[9:10]
	v_fma_f64 v[5:6], -v[5:6], v[18:19], v[16:17]
	v_div_fmas_f64 v[5:6], v[5:6], v[9:10], v[18:19]
	v_div_fixup_f64 v[48:49], v[5:6], v[42:43], 1.0
	v_div_scale_f64 v[5:6], null, v[34:35], v[34:35], 1.0
	v_rcp_f64_e32 v[9:10], v[5:6]
	v_fma_f64 v[16:17], -v[5:6], v[9:10], 1.0
	v_fma_f64 v[9:10], v[9:10], v[16:17], v[9:10]
	v_fma_f64 v[16:17], -v[5:6], v[9:10], 1.0
	v_fma_f64 v[9:10], v[9:10], v[16:17], v[9:10]
	v_div_scale_f64 v[16:17], vcc_lo, 1.0, v[34:35], 1.0
	v_mul_f64 v[18:19], v[16:17], v[9:10]
	v_fma_f64 v[5:6], -v[5:6], v[18:19], v[16:17]
	v_div_fmas_f64 v[5:6], v[5:6], v[9:10], v[18:19]
	v_add_nc_u32_e32 v9, -2, v4
	v_add_nc_u32_e32 v52, v30, v9
	v_div_fixup_f64 v[78:79], v[5:6], v[34:35], 1.0
	v_add_nc_u32_e32 v5, v15, v9
	v_add_nc_u32_e32 v9, -1, v4
	v_ashrrev_i32_e32 v6, 31, v5
	v_add_nc_u32_e32 v56, v30, v9
	v_lshlrev_b64 v[5:6], 3, v[5:6]
	v_add_co_u32 v5, vcc_lo, s10, v5
	v_add_co_ci_u32_e64 v6, null, s11, v6, vcc_lo
	global_load_dwordx2 v[10:11], v[5:6], off
	v_add_nc_u32_e32 v6, v52, v14
	s_waitcnt vmcnt(0)
	buffer_store_dword v10, off, s[28:31], 0 offset:200 ; 4-byte Folded Spill
	buffer_store_dword v11, off, s[28:31], 0 offset:204 ; 4-byte Folded Spill
	v_add_nc_u32_e32 v5, s16, v6
	v_mov_b32_e32 v51, v6
	v_ashrrev_i32_e32 v6, 31, v5
	buffer_store_dword v51, off, s[28:31], 0 offset:224 ; 4-byte Folded Spill
	v_lshlrev_b64 v[5:6], 3, v[5:6]
	v_add_co_u32 v5, vcc_lo, s14, v5
	v_add_co_ci_u32_e64 v6, null, s15, v6, vcc_lo
	global_load_dwordx2 v[12:13], v[5:6], off
	s_waitcnt vmcnt(0)
	buffer_store_dword v12, off, s[28:31], 0 offset:208 ; 4-byte Folded Spill
	buffer_store_dword v13, off, s[28:31], 0 offset:212 ; 4-byte Folded Spill
	v_mul_f64 v[5:6], v[10:11], v[12:13]
	v_mul_f64 v[10:11], v[12:13], v[5:6]
	v_add_nc_u32_e32 v5, v15, v9
	v_add_nc_u32_e32 v9, s0, v4
	s_mov_b32 s0, 0x55555555
	s_mov_b32 s2, s0
	v_ashrrev_i32_e32 v6, 31, v5
	v_add_nc_u32_e32 v100, v8, v9
	v_add_nc_u32_e32 v8, 2, v4
	v_lshlrev_b64 v[5:6], 3, v[5:6]
	v_add_nc_u32_e32 v53, v30, v8
	v_add_co_u32 v5, vcc_lo, s10, v5
	v_add_co_ci_u32_e64 v6, null, s11, v6, vcc_lo
	global_load_dwordx2 v[12:13], v[5:6], off
	v_add_nc_u32_e32 v6, v56, v14
	s_waitcnt vmcnt(0)
	buffer_store_dword v12, off, s[28:31], 0 offset:156 ; 4-byte Folded Spill
	buffer_store_dword v13, off, s[28:31], 0 offset:160 ; 4-byte Folded Spill
	v_add_nc_u32_e32 v5, s16, v6
	v_mov_b32_e32 v50, v6
	v_ashrrev_i32_e32 v6, 31, v5
	buffer_store_dword v50, off, s[28:31], 0 offset:172 ; 4-byte Folded Spill
	v_lshlrev_b64 v[5:6], 3, v[5:6]
	v_add_co_u32 v5, vcc_lo, s14, v5
	v_add_co_ci_u32_e64 v6, null, s15, v6, vcc_lo
	global_load_dwordx2 v[16:17], v[5:6], off
	s_waitcnt vmcnt(0)
	buffer_store_dword v16, off, s[28:31], 0 offset:164 ; 4-byte Folded Spill
	buffer_store_dword v17, off, s[28:31], 0 offset:168 ; 4-byte Folded Spill
	v_mul_f64 v[5:6], v[12:13], v[16:17]
	v_mul_f64 v[16:17], v[16:17], v[5:6]
	v_add_co_u32 v5, vcc_lo, s10, v0
	v_add_co_ci_u32_e64 v6, null, s11, v1, vcc_lo
	global_load_dwordx2 v[12:13], v[5:6], off
	v_add_nc_u32_e32 v6, v100, v14
	v_add_nc_u32_e32 v5, 1, v4
	;; [unrolled: 1-line block ×7, first 2 shown]
	v_ashrrev_i32_e32 v21, 31, v20
	v_ashrrev_i32_e32 v26, 31, v25
	v_add_nc_u32_e32 v5, v57, v14
	v_mul_f64 v[18:19], v[70:71], v[16:17]
	v_lshlrev_b64 v[108:109], 3, v[20:21]
	v_lshlrev_b64 v[25:26], 3, v[25:26]
	v_add_co_u32 v21, vcc_lo, s14, v108
	v_add_co_ci_u32_e64 v22, null, s15, v109, vcc_lo
	v_add_co_u32 v25, vcc_lo, s10, v25
	v_add_co_ci_u32_e64 v26, null, s11, v26, vcc_lo
	global_load_dwordx2 v[21:22], v[21:22], off
	global_load_dwordx2 v[28:29], v[25:26], off
	v_add_nc_u32_e32 v25, s16, v5
	s_waitcnt vmcnt(0)
	buffer_store_dword v28, off, s[28:31], 0 offset:184 ; 4-byte Folded Spill
	buffer_store_dword v29, off, s[28:31], 0 offset:188 ; 4-byte Folded Spill
	v_ashrrev_i32_e32 v26, 31, v25
	buffer_store_dword v5, off, s[28:31], 0 offset:180 ; 4-byte Folded Spill
	v_ashrrev_i32_e32 v5, 31, v4
	v_mul_f64 v[23:24], v[12:13], v[21:22]
	v_lshlrev_b64 v[26:27], 3, v[25:26]
	v_lshlrev_b64 v[4:5], 3, v[4:5]
	v_add_co_u32 v26, vcc_lo, s14, v26
	v_add_co_ci_u32_e64 v27, null, s15, v27, vcc_lo
	v_add_co_u32 v4, vcc_lo, s10, v4
	v_add_co_ci_u32_e64 v5, null, s11, v5, vcc_lo
	global_load_dwordx2 v[40:41], v[26:27], off
	s_waitcnt vmcnt(0)
	buffer_store_dword v40, off, s[28:31], 0 offset:192 ; 4-byte Folded Spill
	buffer_store_dword v41, off, s[28:31], 0 offset:196 ; 4-byte Folded Spill
	global_load_dwordx2 v[46:47], v[4:5], off
	v_add_nc_u32_e32 v4, v53, v14
	v_mul_f64 v[21:22], v[21:22], v[23:24]
	s_waitcnt vmcnt(0)
	buffer_store_dword v46, off, s[28:31], 0 offset:240 ; 4-byte Folded Spill
	buffer_store_dword v47, off, s[28:31], 0 offset:244 ; 4-byte Folded Spill
	v_mul_f64 v[26:27], v[28:29], v[40:41]
	buffer_store_dword v4, off, s[28:31], 0 offset:236 ; 4-byte Folded Spill
	v_add_nc_u32_e32 v4, s16, v4
	v_mul_f64 v[23:24], v[34:35], v[21:22]
	v_mul_f64 v[21:22], v[42:43], v[21:22]
	v_ashrrev_i32_e32 v5, 31, v4
	v_mul_f64 v[26:27], v[40:41], v[26:27]
	v_lshlrev_b64 v[40:41], 3, v[4:5]
	v_add_nc_u32_e32 v4, s19, v4
	v_fma_f64 v[16:17], v[70:71], v[16:17], v[23:24]
	v_add_co_u32 v40, vcc_lo, s14, v40
	v_add_co_ci_u32_e64 v41, null, s15, v41, vcc_lo
	v_ashrrev_i32_e32 v5, 31, v4
	global_load_dwordx2 v[60:61], v[40:41], off
	buffer_store_dword v38, off, s[28:31], 0 offset:228 ; 4-byte Folded Spill
	buffer_store_dword v39, off, s[28:31], 0 offset:232 ; 4-byte Folded Spill
	v_lshlrev_b64 v[4:5], 3, v[4:5]
	v_mul_f64 v[28:29], v[36:37], v[26:27]
	s_waitcnt vmcnt(0)
	v_mul_f64 v[40:41], v[46:47], v[60:61]
	v_fma_f64 v[46:47], v[68:69], v[10:11], v[23:24]
	v_fma_f64 v[10:11], v[68:69], v[10:11], v[28:29]
	v_mul_f64 v[40:41], v[60:61], v[40:41]
	v_fma_f64 v[46:47], 0xbfe80000, v[46:47], v[18:19]
	v_fma_f64 v[10:11], 0x40080000, v[16:17], v[10:11]
	;; [unrolled: 1-line block ×4, first 2 shown]
	v_add_nc_u32_e32 v26, s19, v20
	v_ashrrev_i32_e32 v27, 31, v26
	v_lshlrev_b64 v[62:63], 3, v[26:27]
	v_fma_f64 v[16:17], 0x40080000, v[18:19], v[16:17]
	v_fma_f64 v[18:19], v[38:39], v[40:41], v[23:24]
	v_add_nc_u32_e32 v23, s17, v51
	v_mul_lo_u32 v38, v2, s24
	v_ashrrev_i32_e32 v24, 31, v23
	v_add_nc_u32_e32 v2, v38, v33
	v_lshlrev_b64 v[23:24], 3, v[23:24]
	v_add_nc_u32_e32 v39, s24, v38
	v_add_co_u32 v23, vcc_lo, s8, v23
	v_add_co_ci_u32_e64 v24, null, s9, v24, vcc_lo
	v_add_co_u32 v26, vcc_lo, s8, v62
	v_add_co_ci_u32_e64 v27, null, s9, v63, vcc_lo
	global_load_dwordx2 v[23:24], v[23:24], off
	v_fma_f64 v[18:19], 0xbfe80000, v[18:19], v[28:29]
	v_lshl_add_u32 v58, s24, 1, v39
	global_load_dwordx2 v[76:77], v[26:27], off
	v_add_nc_u32_e32 v26, s17, v50
	v_add_nc_u32_e32 v59, s24, v58
	v_ashrrev_i32_e32 v27, 31, v26
	v_lshlrev_b64 v[26:27], 3, v[26:27]
	v_add_co_u32 v26, vcc_lo, s8, v26
	v_add_co_ci_u32_e64 v27, null, s9, v27, vcc_lo
	global_load_dwordx2 v[26:27], v[26:27], off
	s_waitcnt vmcnt(1)
	v_add_f64 v[23:24], v[23:24], -v[76:77]
	s_waitcnt vmcnt(0)
	v_add_f64 v[26:27], v[26:27], -v[76:77]
	v_mul_f64 v[10:11], v[10:11], v[26:27]
	v_fma_f64 v[10:11], v[46:47], v[23:24], v[10:11]
	v_add_nc_u32_e32 v23, s19, v25
	v_ashrrev_i32_e32 v24, 31, v23
	v_lshlrev_b64 v[23:24], 3, v[23:24]
	v_add_co_u32 v23, vcc_lo, s8, v23
	v_add_co_ci_u32_e64 v24, null, s9, v24, vcc_lo
	v_add_co_u32 v4, vcc_lo, s8, v4
	v_add_co_ci_u32_e64 v5, null, s9, v5, vcc_lo
	s_clause 0x1
	global_load_dwordx2 v[23:24], v[23:24], off
	global_load_dwordx2 v[4:5], v[4:5], off
	s_waitcnt vmcnt(1)
	v_add_f64 v[23:24], v[23:24], -v[76:77]
	s_waitcnt vmcnt(0)
	v_add_f64 v[4:5], v[4:5], -v[76:77]
	v_fma_f64 v[10:11], v[16:17], v[23:24], v[10:11]
	v_fma_f64 v[4:5], v[18:19], v[4:5], v[10:11]
	v_add_nc_u32_e32 v10, v7, v3
	v_add_nc_u32_e32 v3, s25, v3
	v_ashrrev_i32_e32 v11, 31, v10
	v_lshlrev_b64 v[10:11], 3, v[10:11]
	v_add_co_u32 v10, vcc_lo, s10, v10
	v_add_co_ci_u32_e64 v11, null, s11, v11, vcc_lo
	v_mul_f64 v[4:5], v[4:5], s[0:1]
	global_load_dwordx2 v[15:16], v[10:11], off
	s_waitcnt vmcnt(0)
	buffer_store_dword v15, off, s[28:31], 0 offset:80 ; 4-byte Folded Spill
	buffer_store_dword v16, off, s[28:31], 0 offset:84 ; 4-byte Folded Spill
	;; [unrolled: 1-line block ×3, first 2 shown]
	v_add_nc_u32_e32 v8, v8, v14
	v_fma_f64 v[4:5], v[48:49], v[4:5], 0
	v_add_nc_u32_e32 v10, s16, v8
	v_mov_b32_e32 v30, v8
	v_add_nc_u32_e32 v8, v3, v9
	v_ashrrev_i32_e32 v11, 31, v10
	buffer_store_dword v30, off, s[28:31], 0 offset:96 ; 4-byte Folded Spill
	v_lshlrev_b64 v[10:11], 3, v[10:11]
	v_add_co_u32 v10, vcc_lo, s14, v10
	v_add_co_ci_u32_e64 v11, null, s15, v11, vcc_lo
	global_load_dwordx2 v[17:18], v[10:11], off
	s_waitcnt vmcnt(0)
	buffer_store_dword v17, off, s[28:31], 0 offset:88 ; 4-byte Folded Spill
	buffer_store_dword v18, off, s[28:31], 0 offset:92 ; 4-byte Folded Spill
	v_mul_f64 v[10:11], v[15:16], v[17:18]
	v_add_nc_u32_e32 v16, v7, v3
	v_lshl_add_u32 v3, s25, 1, v3
	v_mul_f64 v[10:11], v[17:18], v[10:11]
	v_ashrrev_i32_e32 v17, 31, v16
	v_lshlrev_b64 v[16:17], 3, v[16:17]
	v_add_co_u32 v16, vcc_lo, s10, v16
	v_add_co_ci_u32_e64 v17, null, s11, v17, vcc_lo
	global_load_dwordx2 v[19:20], v[16:17], off
	s_waitcnt vmcnt(0)
	buffer_store_dword v19, off, s[28:31], 0 offset:12 ; 4-byte Folded Spill
	buffer_store_dword v20, off, s[28:31], 0 offset:16 ; 4-byte Folded Spill
	;; [unrolled: 1-line block ×3, first 2 shown]
	v_add_nc_u32_e32 v8, v8, v14
	v_add_nc_u32_e32 v16, s16, v8
	buffer_store_dword v8, off, s[28:31], 0 offset:8 ; 4-byte Folded Spill
	v_add_nc_u32_e32 v8, v3, v9
	v_ashrrev_i32_e32 v17, 31, v16
	v_lshlrev_b64 v[17:18], 3, v[16:17]
	v_add_co_u32 v17, vcc_lo, s14, v17
	v_add_co_ci_u32_e64 v18, null, s15, v18, vcc_lo
	global_load_dwordx2 v[23:24], v[17:18], off
	s_waitcnt vmcnt(0)
	buffer_store_dword v23, off, s[28:31], 0 offset:20 ; 4-byte Folded Spill
	buffer_store_dword v24, off, s[28:31], 0 offset:24 ; 4-byte Folded Spill
	v_mul_f64 v[17:18], v[19:20], v[23:24]
	v_mul_f64 v[17:18], v[23:24], v[17:18]
	v_add_nc_u32_e32 v23, v7, v3
	v_add_nc_u32_e32 v3, s25, v3
	v_ashrrev_i32_e32 v24, 31, v23
	v_lshlrev_b64 v[23:24], 3, v[23:24]
	v_add_co_u32 v23, vcc_lo, s10, v23
	v_add_co_ci_u32_e64 v24, null, s11, v24, vcc_lo
	v_mul_f64 v[19:20], v[66:67], v[17:18]
	global_load_dwordx2 v[26:27], v[23:24], off
	s_waitcnt vmcnt(0)
	buffer_store_dword v26, off, s[28:31], 0 offset:40 ; 4-byte Folded Spill
	buffer_store_dword v27, off, s[28:31], 0 offset:44 ; 4-byte Folded Spill
	;; [unrolled: 1-line block ×3, first 2 shown]
	v_add_nc_u32_e32 v8, v8, v14
	v_add_nc_u32_e32 v23, s16, v8
	buffer_store_dword v8, off, s[28:31], 0 offset:36 ; 4-byte Folded Spill
	v_ashrrev_i32_e32 v24, 31, v23
	v_lshlrev_b64 v[24:25], 3, v[23:24]
	v_add_co_u32 v24, vcc_lo, s14, v24
	v_add_co_ci_u32_e64 v25, null, s15, v25, vcc_lo
	global_load_dwordx2 v[28:29], v[24:25], off
	s_waitcnt vmcnt(0)
	buffer_store_dword v28, off, s[28:31], 0 offset:48 ; 4-byte Folded Spill
	buffer_store_dword v29, off, s[28:31], 0 offset:52 ; 4-byte Folded Spill
	v_mul_f64 v[24:25], v[26:27], v[28:29]
	v_mul_f64 v[24:25], v[28:29], v[24:25]
	v_add_nc_u32_e32 v28, v7, v3
	v_add_nc_u32_e32 v3, v3, v9
	v_ashrrev_i32_e32 v29, 31, v28
	v_lshlrev_b64 v[28:29], 3, v[28:29]
	v_add_co_u32 v28, vcc_lo, s10, v28
	v_add_co_ci_u32_e64 v29, null, s11, v29, vcc_lo
	v_mul_f64 v[26:27], v[44:45], v[24:25]
	global_load_dwordx2 v[7:8], v[28:29], off
	s_waitcnt vmcnt(0)
	buffer_store_dword v7, off, s[28:31], 0 offset:128 ; 4-byte Folded Spill
	buffer_store_dword v8, off, s[28:31], 0 offset:132 ; 4-byte Folded Spill
	buffer_store_dword v3, off, s[28:31], 0 offset:176 ; 4-byte Folded Spill
	v_add_nc_u32_e32 v3, v3, v14
	v_add_nc_u32_e32 v28, s16, v3
	buffer_store_dword v3, off, s[28:31], 0 offset:108 ; 4-byte Folded Spill
	v_ashrrev_i32_e32 v3, 31, v2
	v_ashrrev_i32_e32 v29, 31, v28
	v_lshlrev_b64 v[2:3], 3, v[2:3]
	v_lshlrev_b64 v[40:41], 3, v[28:29]
	v_add_co_u32 v40, vcc_lo, s14, v40
	v_add_co_ci_u32_e64 v41, null, s15, v41, vcc_lo
	global_load_dwordx2 v[14:15], v[40:41], off
	s_waitcnt vmcnt(0)
	buffer_store_dword v14, off, s[28:31], 0 offset:120 ; 4-byte Folded Spill
	buffer_store_dword v15, off, s[28:31], 0 offset:124 ; 4-byte Folded Spill
	;; [unrolled: 1-line block ×8, first 2 shown]
	v_fma_f64 v[50:51], v[64:65], v[10:11], v[21:22]
	v_mul_f64 v[40:41], v[7:8], v[14:15]
	v_fma_f64 v[10:11], v[64:65], v[10:11], v[26:27]
	v_fma_f64 v[17:18], v[66:67], v[17:18], v[21:22]
	;; [unrolled: 1-line block ×3, first 2 shown]
	v_mul_f64 v[40:41], v[14:15], v[40:41]
	v_fma_f64 v[10:11], 0x40080000, v[17:18], v[10:11]
	v_fma_f64 v[17:18], v[31:32], v[40:41], v[19:20]
	;; [unrolled: 1-line block ×3, first 2 shown]
	v_add_nc_u32_e32 v24, s19, v16
	v_add_nc_u32_e32 v16, s19, v28
	v_ashrrev_i32_e32 v25, 31, v24
	v_fma_f64 v[17:18], 0x40080000, v[19:20], v[17:18]
	v_fma_f64 v[19:20], v[31:32], v[40:41], v[21:22]
	v_add_nc_u32_e32 v21, s17, v30
	v_ashrrev_i32_e32 v22, 31, v21
	v_lshlrev_b64 v[7:8], 3, v[21:22]
	buffer_store_dword v7, off, s[28:31], 0 offset:100 ; 4-byte Folded Spill
	buffer_store_dword v8, off, s[28:31], 0 offset:104 ; 4-byte Folded Spill
	v_fma_f64 v[19:20], 0xbfe80000, v[19:20], v[26:27]
	v_add_co_u32 v21, vcc_lo, s8, v7
	v_add_co_ci_u32_e64 v22, null, s9, v8, vcc_lo
	v_lshlrev_b64 v[7:8], 3, v[24:25]
	global_load_dwordx2 v[21:22], v[21:22], off
	buffer_store_dword v7, off, s[28:31], 0 offset:28 ; 4-byte Folded Spill
	buffer_store_dword v8, off, s[28:31], 0 offset:32 ; 4-byte Folded Spill
	s_waitcnt vmcnt(0)
	v_add_f64 v[21:22], v[21:22], -v[76:77]
	v_add_co_u32 v24, vcc_lo, s8, v7
	v_add_co_ci_u32_e64 v25, null, s9, v8, vcc_lo
	global_load_dwordx2 v[24:25], v[24:25], off
	s_waitcnt vmcnt(0)
	v_add_f64 v[24:25], v[24:25], -v[76:77]
	v_mul_f64 v[10:11], v[10:11], v[24:25]
	v_fma_f64 v[10:11], v[50:51], v[21:22], v[10:11]
	v_add_nc_u32_e32 v21, s19, v23
	v_add_nc_u32_e32 v23, v58, v100
	v_ashrrev_i32_e32 v22, 31, v21
	v_lshlrev_b64 v[7:8], 3, v[21:22]
	buffer_store_dword v7, off, s[28:31], 0 offset:72 ; 4-byte Folded Spill
	buffer_store_dword v8, off, s[28:31], 0 offset:76 ; 4-byte Folded Spill
	v_add_co_u32 v21, vcc_lo, s8, v7
	v_add_co_ci_u32_e64 v22, null, s9, v8, vcc_lo
	global_load_dwordx2 v[21:22], v[21:22], off
	s_waitcnt vmcnt(0)
	v_add_f64 v[21:22], v[21:22], -v[76:77]
	v_fma_f64 v[10:11], v[17:18], v[21:22], v[10:11]
	v_ashrrev_i32_e32 v17, 31, v16
	v_add_nc_u32_e32 v18, v38, v100
	v_add_nc_u32_e32 v22, v59, v100
	v_lshlrev_b64 v[7:8], 3, v[16:17]
	buffer_store_dword v7, off, s[28:31], 0 offset:136 ; 4-byte Folded Spill
	buffer_store_dword v8, off, s[28:31], 0 offset:140 ; 4-byte Folded Spill
	v_add_co_u32 v16, vcc_lo, s8, v7
	v_add_co_ci_u32_e64 v17, null, s9, v8, vcc_lo
	global_load_dwordx2 v[16:17], v[16:17], off
	s_waitcnt vmcnt(0)
	v_add_f64 v[16:17], v[16:17], -v[76:77]
	v_fma_f64 v[10:11], v[19:20], v[16:17], v[10:11]
	v_add_nc_u32_e32 v19, v39, v100
	v_add_nc_u32_e32 v20, s19, v23
	v_ashrrev_i32_e32 v21, 31, v20
	v_lshlrev_b64 v[30:31], 3, v[20:21]
	v_add_nc_u32_e32 v20, s19, v20
	v_ashrrev_i32_e32 v21, 31, v20
	v_mul_f64 v[10:11], v[10:11], s[0:1]
	v_lshlrev_b64 v[20:21], 3, v[20:21]
	v_fma_f64 v[28:29], v[78:79], v[10:11], v[4:5]
	v_add_co_u32 v4, vcc_lo, s10, v2
	v_add_co_ci_u32_e64 v5, null, s11, v3, vcc_lo
	v_add_co_u32 v2, vcc_lo, s12, v2
	v_add_co_ci_u32_e64 v3, null, s13, v3, vcc_lo
	global_load_dwordx2 v[66:67], v[4:5], off
	v_add_nc_u32_e32 v4, s19, v18
	global_load_dwordx2 v[92:93], v[2:3], off
	v_ashrrev_i32_e32 v5, 31, v4
	v_lshlrev_b64 v[110:111], 3, v[4:5]
	v_add_nc_u32_e32 v4, s19, v4
	v_ashrrev_i32_e32 v5, 31, v4
	v_add_co_u32 v2, vcc_lo, s14, v110
	v_add_co_ci_u32_e64 v3, null, s15, v111, vcc_lo
	v_lshlrev_b64 v[4:5], 3, v[4:5]
	global_load_dwordx2 v[90:91], v[2:3], off
	v_add_co_u32 v4, vcc_lo, s14, v4
	v_add_co_ci_u32_e64 v5, null, s15, v5, vcc_lo
	global_load_dwordx2 v[94:95], v[4:5], off
	v_add_nc_u32_e32 v4, v39, v33
	v_ashrrev_i32_e32 v5, 31, v4
	v_lshlrev_b64 v[4:5], 3, v[4:5]
	v_add_co_u32 v10, vcc_lo, s10, v4
	v_add_co_ci_u32_e64 v11, null, s11, v5, vcc_lo
	v_add_co_u32 v4, vcc_lo, s12, v4
	v_add_co_ci_u32_e64 v5, null, s13, v5, vcc_lo
	global_load_dwordx2 v[14:15], v[10:11], off
	v_add_nc_u32_e32 v10, s19, v19
	global_load_dwordx2 v[86:87], v[4:5], off
	v_ashrrev_i32_e32 v11, 31, v10
	v_lshlrev_b64 v[126:127], 3, v[10:11]
	v_add_nc_u32_e32 v10, s19, v10
	v_ashrrev_i32_e32 v11, 31, v10
	v_add_co_u32 v4, vcc_lo, s14, v126
	v_add_co_ci_u32_e64 v5, null, s15, v127, vcc_lo
	v_lshlrev_b64 v[10:11], 3, v[10:11]
	global_load_dwordx2 v[84:85], v[4:5], off
	v_add_co_u32 v10, vcc_lo, s14, v10
	v_add_co_ci_u32_e64 v11, null, s15, v11, vcc_lo
	v_add_co_u32 v0, vcc_lo, s12, v0
	v_add_co_ci_u32_e64 v1, null, s13, v1, vcc_lo
	global_load_dwordx2 v[88:89], v[10:11], off
	global_load_dwordx2 v[112:113], v[0:1], off
	v_add_nc_u32_e32 v0, s19, v6
	v_ashrrev_i32_e32 v1, 31, v0
	v_lshlrev_b64 v[80:81], 3, v[0:1]
	v_add_nc_u32_e32 v0, s19, v0
	v_add_co_u32 v6, vcc_lo, s14, v80
	v_add_co_ci_u32_e64 v7, null, s15, v81, vcc_lo
	v_ashrrev_i32_e32 v1, 31, v0
	global_load_dwordx2 v[114:115], v[6:7], off
	v_lshlrev_b64 v[0:1], 3, v[0:1]
	v_add_co_u32 v0, vcc_lo, s14, v0
	v_add_co_ci_u32_e64 v1, null, s15, v1, vcc_lo
	global_load_dwordx2 v[116:117], v[0:1], off
	s_waitcnt vmcnt(9)
	v_add_f64 v[72:73], v[66:67], v[92:93]
	s_waitcnt vmcnt(8)
	v_mul_f64 v[2:3], v[72:73], v[90:91]
	s_waitcnt vmcnt(5)
	v_add_f64 v[40:41], v[14:15], v[86:87]
	s_waitcnt vmcnt(4)
	v_mul_f64 v[4:5], v[40:41], v[84:85]
	s_waitcnt vmcnt(2)
	v_add_f64 v[98:99], v[12:13], v[112:113]
	v_mul_f64 v[122:123], v[4:5], v[88:89]
	s_waitcnt vmcnt(1)
	v_mul_f64 v[6:7], v[98:99], v[114:115]
	s_waitcnt vmcnt(0)
	v_mul_f64 v[8:9], v[6:7], v[116:117]
	v_add_nc_u32_e32 v6, v58, v33
	v_ashrrev_i32_e32 v7, 31, v6
	v_lshlrev_b64 v[6:7], 3, v[6:7]
	v_add_co_u32 v10, vcc_lo, s10, v6
	v_add_co_ci_u32_e64 v11, null, s11, v7, vcc_lo
	v_add_co_u32 v6, vcc_lo, s12, v6
	v_add_co_ci_u32_e64 v7, null, s13, v7, vcc_lo
	global_load_dwordx2 v[74:75], v[10:11], off
	v_fma_f64 v[4:5], v[4:5], v[88:89], v[8:9]
	global_load_dwordx2 v[102:103], v[6:7], off
	v_add_co_u32 v6, vcc_lo, s14, v30
	v_add_co_ci_u32_e64 v7, null, s15, v31, vcc_lo
	v_add_co_u32 v20, vcc_lo, s14, v20
	v_add_co_ci_u32_e64 v21, null, s15, v21, vcc_lo
	s_clause 0x1
	global_load_dwordx2 v[104:105], v[6:7], off
	global_load_dwordx2 v[106:107], v[20:21], off
	v_add_nc_u32_e32 v20, v59, v33
	v_ashrrev_i32_e32 v21, 31, v20
	v_lshlrev_b64 v[20:21], 3, v[20:21]
	v_add_co_u32 v26, vcc_lo, s10, v20
	v_add_co_ci_u32_e64 v27, null, s11, v21, vcc_lo
	v_add_co_u32 v20, vcc_lo, s12, v20
	v_add_co_ci_u32_e64 v21, null, s13, v21, vcc_lo
	global_load_dwordx2 v[96:97], v[26:27], off
	global_load_dwordx2 v[120:121], v[20:21], off
	v_add_nc_u32_e32 v20, s19, v22
	v_ashrrev_i32_e32 v21, 31, v20
	v_lshlrev_b64 v[24:25], 3, v[20:21]
	v_add_nc_u32_e32 v20, s19, v20
	v_add_co_u32 v100, vcc_lo, s14, v24
	v_add_co_ci_u32_e64 v101, null, s15, v25, vcc_lo
	v_ashrrev_i32_e32 v21, 31, v20
	global_load_dwordx2 v[118:119], v[100:101], off
	v_lshlrev_b64 v[20:21], 3, v[20:21]
	v_add_co_u32 v20, vcc_lo, s14, v20
	v_add_co_ci_u32_e64 v21, null, s15, v21, vcc_lo
	global_load_dwordx2 v[124:125], v[20:21], off
	v_fma_f64 v[20:21], v[2:3], v[94:95], v[8:9]
	v_fma_f64 v[16:17], 0xbfe80000, v[20:21], v[122:123]
	s_waitcnt vmcnt(6)
	v_add_f64 v[54:55], v[74:75], v[102:103]
	s_waitcnt vmcnt(5)
	v_mul_f64 v[6:7], v[54:55], v[104:105]
	s_waitcnt vmcnt(2)
	v_add_f64 v[26:27], v[96:97], v[120:121]
	v_mul_f64 v[82:83], v[6:7], v[106:107]
	s_waitcnt vmcnt(1)
	v_mul_f64 v[100:101], v[26:27], v[118:119]
	v_fma_f64 v[2:3], v[2:3], v[94:95], v[82:83]
	v_fma_f64 v[0:1], 0x40080000, v[4:5], v[2:3]
	s_waitcnt vmcnt(0)
	v_fma_f64 v[2:3], v[100:101], v[124:125], v[122:123]
	v_fma_f64 v[4:5], v[6:7], v[106:107], v[8:9]
	;; [unrolled: 1-line block ×5, first 2 shown]
	v_add_nc_u32_e32 v82, s16, v18
	v_ashrrev_i32_e32 v83, 31, v82
	v_lshlrev_b64 v[122:123], 3, v[82:83]
	v_add_co_u32 v2, vcc_lo, s8, v122
	v_add_co_ci_u32_e64 v3, null, s9, v123, vcc_lo
	v_add_co_u32 v4, vcc_lo, s8, v108
	v_add_co_ci_u32_e64 v5, null, s9, v109, vcc_lo
	s_clause 0x1
	global_load_dwordx2 v[2:3], v[2:3], off
	global_load_dwordx2 v[4:5], v[4:5], off
	s_waitcnt vmcnt(0)
	v_add_f64 v[8:9], v[2:3], -v[4:5]
	v_add_nc_u32_e32 v2, s16, v19
	v_ashrrev_i32_e32 v3, 31, v2
	v_lshlrev_b64 v[108:109], 3, v[2:3]
	v_add_co_u32 v18, vcc_lo, s8, v108
	v_add_co_ci_u32_e64 v19, null, s9, v109, vcc_lo
	global_load_dwordx2 v[18:19], v[18:19], off
	s_waitcnt vmcnt(0)
	v_add_f64 v[18:19], v[18:19], -v[4:5]
	v_mul_f64 v[0:1], v[0:1], v[18:19]
	v_fma_f64 v[16:17], v[16:17], v[8:9], v[0:1]
	v_add_nc_u32_e32 v0, s16, v23
	v_ashrrev_i32_e32 v1, 31, v0
	v_lshlrev_b64 v[18:19], 3, v[0:1]
	v_add_nc_u32_e32 v1, s19, v2
	v_add_nc_u32_e32 v0, s19, v0
	v_add_co_u32 v8, vcc_lo, s8, v18
	v_add_co_ci_u32_e64 v9, null, s9, v19, vcc_lo
	v_ashrrev_i32_e32 v2, 31, v1
	global_load_dwordx2 v[100:101], v[8:9], off
	s_waitcnt vmcnt(0)
	v_add_f64 v[8:9], v[100:101], -v[4:5]
	v_fma_f64 v[8:9], v[20:21], v[8:9], v[16:17]
	v_add_nc_u32_e32 v16, s16, v22
	v_ashrrev_i32_e32 v17, 31, v16
	v_lshlrev_b64 v[20:21], 3, v[16:17]
	v_add_co_u32 v22, vcc_lo, s8, v20
	v_add_co_ci_u32_e64 v23, null, s9, v21, vcc_lo
	global_load_dwordx2 v[22:23], v[22:23], off
	s_waitcnt vmcnt(0)
	v_add_f64 v[3:4], v[22:23], -v[4:5]
	v_fma_f64 v[3:4], v[6:7], v[3:4], v[8:9]
	v_add_nc_u32_e32 v6, s19, v16
	v_ashrrev_i32_e32 v7, 31, v6
	v_lshlrev_b64 v[6:7], 3, v[6:7]
	v_mul_f64 v[3:4], v[3:4], s[0:1]
	v_fma_f64 v[10:11], v[48:49], v[3:4], v[28:29]
	v_add_nc_u32_e32 v3, s19, v82
	v_ashrrev_i32_e32 v4, 31, v3
	v_lshlrev_b64 v[4:5], 3, v[3:4]
	v_lshlrev_b64 v[2:3], 3, v[1:2]
	v_ashrrev_i32_e32 v1, 31, v0
	v_add_co_u32 v8, vcc_lo, s14, v4
	v_add_co_ci_u32_e64 v9, null, s15, v5, vcc_lo
	v_add_co_u32 v22, vcc_lo, s14, v2
	v_add_co_ci_u32_e64 v23, null, s15, v3, vcc_lo
	s_clause 0x1
	global_load_dwordx2 v[100:101], v[8:9], off
	global_load_dwordx2 v[82:83], v[22:23], off
	buffer_store_dword v62, off, s[28:31], 0 offset:216 ; 4-byte Folded Spill
	buffer_store_dword v63, off, s[28:31], 0 offset:220 ; 4-byte Folded Spill
	s_waitcnt vmcnt(1)
	v_mul_f64 v[8:9], v[72:73], v[100:101]
	v_add_co_u32 v22, vcc_lo, s14, v62
	v_add_co_ci_u32_e64 v23, null, s15, v63, vcc_lo
	s_waitcnt vmcnt(0)
	v_mul_f64 v[72:73], v[40:41], v[82:83]
	global_load_dwordx2 v[40:41], v[22:23], off
	v_mul_f64 v[28:29], v[88:89], v[72:73]
	s_waitcnt vmcnt(0)
	v_mul_f64 v[22:23], v[98:99], v[40:41]
	v_mul_f64 v[32:33], v[116:117], v[22:23]
	v_lshlrev_b64 v[22:23], 3, v[0:1]
	v_add_co_u32 v0, vcc_lo, s14, v22
	v_add_co_ci_u32_e64 v1, null, s15, v23, vcc_lo
	v_add_co_u32 v16, vcc_lo, s14, v6
	v_add_co_ci_u32_e64 v17, null, s15, v7, vcc_lo
	s_clause 0x1
	global_load_dwordx2 v[98:99], v[0:1], off
	global_load_dwordx2 v[16:17], v[16:17], off
	v_fma_f64 v[46:47], v[94:95], v[8:9], v[32:33]
	v_fma_f64 v[72:73], v[88:89], v[72:73], v[32:33]
	;; [unrolled: 1-line block ×3, first 2 shown]
	s_waitcnt vmcnt(1)
	v_mul_f64 v[54:55], v[54:55], v[98:99]
	s_waitcnt vmcnt(0)
	v_mul_f64 v[26:27], v[26:27], v[16:17]
	v_mul_f64 v[0:1], v[106:107], v[54:55]
	v_fma_f64 v[54:55], v[106:107], v[54:55], v[32:33]
	v_fma_f64 v[28:29], v[124:125], v[26:27], v[28:29]
	;; [unrolled: 1-line block ×6, first 2 shown]
	v_add_co_u32 v26, vcc_lo, s8, v110
	v_add_co_ci_u32_e64 v27, null, s9, v111, vcc_lo
	v_add_co_u32 v32, vcc_lo, s8, v80
	v_add_co_ci_u32_e64 v33, null, s9, v81, vcc_lo
	;; [unrolled: 2-line block ×3, first 2 shown]
	s_clause 0x1
	global_load_dwordx2 v[26:27], v[26:27], off
	global_load_dwordx2 v[32:33], v[32:33], off
	v_mov_b32_e32 v81, v15
	global_load_dwordx2 v[54:55], v[54:55], off
	v_mov_b32_e32 v80, v14
	v_fma_f64 v[8:9], 0x40080000, v[72:73], v[8:9]
	s_waitcnt vmcnt(1)
	v_add_f64 v[26:27], v[26:27], -v[32:33]
	s_waitcnt vmcnt(0)
	v_add_f64 v[54:55], v[54:55], -v[32:33]
	v_mul_f64 v[8:9], v[8:9], v[54:55]
	v_fma_f64 v[8:9], v[46:47], v[26:27], v[8:9]
	v_add_co_u32 v26, vcc_lo, s8, v30
	v_add_co_ci_u32_e64 v27, null, s9, v31, vcc_lo
	v_add_co_u32 v24, vcc_lo, s8, v24
	v_add_co_ci_u32_e64 v25, null, s9, v25, vcc_lo
	global_load_dwordx2 v[26:27], v[26:27], off
	v_add_co_u32 v4, vcc_lo, s8, v4
	global_load_dwordx2 v[24:25], v[24:25], off
	v_add_co_ci_u32_e64 v5, null, s9, v5, vcc_lo
	v_add_co_u32 v2, vcc_lo, s8, v2
	v_add_co_ci_u32_e64 v3, null, s9, v3, vcc_lo
	v_mul_f64 v[30:31], v[42:43], v[16:17]
	v_mul_f64 v[30:31], v[16:17], v[30:31]
	;; [unrolled: 1-line block ×3, first 2 shown]
	s_waitcnt vmcnt(1)
	v_add_f64 v[26:27], v[26:27], -v[32:33]
	s_waitcnt vmcnt(0)
	v_add_f64 v[24:25], v[24:25], -v[32:33]
	v_fma_f64 v[8:9], v[28:29], v[26:27], v[8:9]
	v_mul_f64 v[26:27], v[42:43], v[40:41]
	v_mul_f64 v[28:29], v[42:43], v[98:99]
	v_fma_f64 v[0:1], v[0:1], v[24:25], v[8:9]
	v_mul_f64 v[8:9], v[34:35], v[90:91]
	v_mul_f64 v[24:25], v[42:43], v[82:83]
	;; [unrolled: 1-line block ×9, first 2 shown]
	v_fma_f64 v[0:1], v[78:79], v[0:1], v[10:11]
	v_mul_f64 v[10:11], v[42:43], v[100:101]
	buffer_store_dword v0, off, s[28:31], 0 offset:248 ; 4-byte Folded Spill
	buffer_store_dword v1, off, s[28:31], 0 offset:252 ; 4-byte Folded Spill
	;; [unrolled: 1-line block ×4, first 2 shown]
	s_clause 0x1
	global_load_dwordx2 v[4:5], v[4:5], off
	global_load_dwordx2 v[2:3], v[2:3], off
	v_mul_f64 v[10:11], v[100:101], v[10:11]
	v_fma_f64 v[0:1], v[66:67], 2.0, v[92:93]
	v_mul_f64 v[24:25], v[42:43], v[24:25]
	v_mul_f64 v[10:11], v[42:43], v[10:11]
	;; [unrolled: 1-line block ×3, first 2 shown]
	v_fma_f64 v[8:9], v[34:35], v[8:9], v[10:11]
	v_mul_f64 v[10:11], v[34:35], v[84:85]
	v_mul_f64 v[8:9], v[66:67], v[8:9]
	;; [unrolled: 1-line block ×3, first 2 shown]
	v_fma_f64 v[0:1], v[94:95], v[0:1], v[8:9]
	v_fma_f64 v[8:9], v[14:15], 2.0, v[86:87]
	v_fma_f64 v[10:11], v[34:35], v[10:11], v[24:25]
	v_mul_f64 v[24:25], v[34:35], v[114:115]
	v_mul_f64 v[8:9], v[8:9], v[88:89]
	;; [unrolled: 1-line block ×4, first 2 shown]
	v_fma_f64 v[8:9], v[88:89], v[8:9], v[10:11]
	v_fma_f64 v[10:11], v[12:13], 2.0, v[112:113]
	v_fma_f64 v[24:25], v[34:35], v[24:25], v[26:27]
	v_mul_f64 v[26:27], v[34:35], v[104:105]
	v_mul_f64 v[10:11], v[10:11], v[116:117]
	;; [unrolled: 1-line block ×4, first 2 shown]
	v_add3_u32 v12, v39, v56, s16
	v_ashrrev_i32_e32 v13, 31, v12
	v_fma_f64 v[24:25], v[116:117], v[10:11], v[24:25]
	v_fma_f64 v[10:11], v[74:75], 2.0, v[102:103]
	v_fma_f64 v[26:27], v[34:35], v[26:27], v[28:29]
	v_mul_f64 v[28:29], v[34:35], v[118:119]
	v_mul_f64 v[10:11], v[10:11], v[106:107]
	;; [unrolled: 1-line block ×4, first 2 shown]
	v_fma_f64 v[26:27], v[106:107], v[10:11], v[26:27]
	v_fma_f64 v[10:11], v[96:97], 2.0, v[120:121]
	v_fma_f64 v[28:29], v[34:35], v[28:29], v[30:31]
	v_mul_f64 v[10:11], v[10:11], v[124:125]
	v_mul_f64 v[28:29], v[96:97], v[28:29]
	v_fma_f64 v[28:29], v[124:125], v[10:11], v[28:29]
	v_add_f64 v[10:11], v[0:1], v[24:25]
	v_add_f64 v[0:1], v[0:1], v[26:27]
	v_fma_f64 v[30:31], 0xbfe80000, v[10:11], v[8:9]
	v_add_f64 v[10:11], v[8:9], v[24:25]
	v_add_f64 v[8:9], v[8:9], v[28:29]
	v_mul_f64 v[84:85], v[80:81], v[84:85]
	v_fma_f64 v[0:1], 0x40080000, v[10:11], v[0:1]
	s_waitcnt vmcnt(0)
	v_add_f64 v[2:3], v[2:3], -v[76:77]
	v_add_f64 v[10:11], v[24:25], v[26:27]
	v_add_f64 v[4:5], v[4:5], -v[76:77]
	v_mul_f64 v[0:1], v[0:1], v[2:3]
	v_add_co_u32 v2, vcc_lo, s8, v22
	v_add_co_ci_u32_e64 v3, null, s9, v23, vcc_lo
	v_fma_f64 v[10:11], 0x40080000, v[10:11], v[8:9]
	v_add_f64 v[8:9], v[24:25], v[28:29]
	v_add3_u32 v24, v59, v56, s16
	global_load_dwordx2 v[2:3], v[2:3], off
	v_ashrrev_i32_e32 v25, 31, v24
	v_fma_f64 v[0:1], v[30:31], v[4:5], v[0:1]
	v_fma_f64 v[8:9], 0xbfe80000, v[8:9], v[26:27]
	s_waitcnt vmcnt(0)
	v_add_f64 v[2:3], v[2:3], -v[76:77]
	v_fma_f64 v[0:1], v[10:11], v[2:3], v[0:1]
	v_add_co_u32 v2, vcc_lo, s8, v6
	v_add_co_ci_u32_e64 v3, null, s9, v7, vcc_lo
	v_add_co_u32 v4, vcc_lo, s14, v20
	v_add_co_ci_u32_e64 v5, null, s15, v21, vcc_lo
	global_load_dwordx2 v[2:3], v[2:3], off
	global_load_dwordx2 v[14:15], v[4:5], off
	v_mul_f64 v[4:5], v[78:79], v[48:49]
	s_waitcnt vmcnt(1)
	v_add_f64 v[2:3], v[2:3], -v[76:77]
	v_fma_f64 v[0:1], v[8:9], v[2:3], v[0:1]
	v_mul_f64 v[2:3], v[120:121], v[124:125]
	v_mul_f64 v[0:1], v[0:1], s[0:1]
	s_waitcnt vmcnt(0)
	v_mul_f64 v[26:27], v[2:3], v[14:15]
	v_add3_u32 v2, v59, v53, s16
	s_mov_b32 s1, 0xbfb55555
	v_ashrrev_i32_e32 v3, 31, v2
	v_lshlrev_b64 v[6:7], 3, v[2:3]
	v_add_nc_u32_e32 v2, s19, v2
	v_add_co_u32 v6, vcc_lo, s8, v6
	v_add_co_ci_u32_e64 v7, null, s9, v7, vcc_lo
	v_ashrrev_i32_e32 v3, 31, v2
	global_load_dwordx2 v[114:115], v[6:7], off
	v_add3_u32 v6, v59, v52, s16
	v_lshlrev_b64 v[2:3], 3, v[2:3]
	v_ashrrev_i32_e32 v7, 31, v6
	v_lshlrev_b64 v[7:8], 3, v[6:7]
	v_add_co_u32 v7, vcc_lo, s8, v7
	v_add_co_ci_u32_e64 v8, null, s9, v8, vcc_lo
	global_load_dwordx2 v[112:113], v[7:8], off
	s_waitcnt vmcnt(0)
	v_add_f64 v[7:8], v[114:115], -v[112:113]
	v_mul_f64 v[10:11], v[7:8], s[0:1]
	v_add3_u32 v7, v59, v57, s16
	v_ashrrev_i32_e32 v8, 31, v7
	v_lshlrev_b64 v[8:9], 3, v[7:8]
	v_add_co_u32 v8, vcc_lo, s8, v8
	v_add_co_ci_u32_e64 v9, null, s9, v9, vcc_lo
	global_load_dwordx2 v[22:23], v[8:9], off
	v_lshlrev_b64 v[8:9], 3, v[24:25]
	v_add_co_u32 v8, vcc_lo, s8, v8
	v_add_co_ci_u32_e64 v9, null, s9, v9, vcc_lo
	v_add_co_u32 v2, vcc_lo, s8, v2
	v_add_co_ci_u32_e64 v3, null, s9, v3, vcc_lo
	s_clause 0x1
	global_load_dwordx2 v[8:9], v[8:9], off
	global_load_dwordx2 v[116:117], v[2:3], off
	v_add_nc_u32_e32 v2, s19, v6
	v_add_nc_u32_e32 v6, s19, v7
	v_ashrrev_i32_e32 v3, 31, v2
	v_ashrrev_i32_e32 v7, 31, v6
	v_lshlrev_b64 v[2:3], 3, v[2:3]
	v_lshlrev_b64 v[6:7], 3, v[6:7]
	v_add_co_u32 v2, vcc_lo, s8, v2
	v_add_co_ci_u32_e64 v3, null, s9, v3, vcc_lo
	v_add_co_u32 v6, vcc_lo, s8, v6
	v_add_co_ci_u32_e64 v7, null, s9, v7, vcc_lo
	global_load_dwordx2 v[110:111], v[2:3], off
	s_waitcnt vmcnt(2)
	v_add_f64 v[20:21], v[22:23], -v[8:9]
	v_fma_f64 v[10:11], v[20:21], s[2:3], v[10:11]
	global_load_dwordx2 v[20:21], v[6:7], off
	v_add_nc_u32_e32 v6, s19, v24
	s_waitcnt vmcnt(1)
	v_add_f64 v[2:3], v[116:117], -v[110:111]
	v_ashrrev_i32_e32 v7, 31, v6
	v_lshlrev_b64 v[6:7], 3, v[6:7]
	v_add_co_u32 v6, vcc_lo, s8, v6
	v_add_co_ci_u32_e64 v7, null, s9, v7, vcc_lo
	v_mul_f64 v[28:29], v[26:27], v[10:11]
	v_mul_f64 v[10:11], v[96:97], v[118:119]
	v_add_co_u32 v24, vcc_lo, s14, v122
	v_add_co_ci_u32_e64 v25, null, s15, v123, vcc_lo
	v_mul_f64 v[2:3], v[2:3], s[0:1]
	global_load_dwordx2 v[24:25], v[24:25], off
	v_mul_f64 v[30:31], v[10:11], v[14:15]
	global_load_dwordx2 v[10:11], v[6:7], off
	s_waitcnt vmcnt(0)
	v_add_f64 v[6:7], v[20:21], -v[10:11]
	v_fma_f64 v[2:3], v[6:7], s[2:3], v[2:3]
	v_mul_f64 v[6:7], v[92:93], v[94:95]
	v_mul_f64 v[2:3], v[30:31], v[2:3]
	;; [unrolled: 1-line block ×3, first 2 shown]
	v_add3_u32 v6, v38, v53, s16
	v_add3_u32 v31, v38, v57, s16
	v_ashrrev_i32_e32 v7, 31, v6
	v_ashrrev_i32_e32 v32, 31, v31
	v_add_nc_u32_e32 v72, s19, v31
	v_lshlrev_b64 v[32:33], 3, v[31:32]
	v_ashrrev_i32_e32 v73, 31, v72
	v_lshlrev_b64 v[72:73], 3, v[72:73]
	v_mul_f64 v[2:3], v[34:35], v[2:3]
	v_mul_f64 v[2:3], v[48:49], v[2:3]
	v_fma_f64 v[2:3], v[48:49], v[28:29], v[2:3]
	v_lshlrev_b64 v[28:29], 3, v[6:7]
	v_add_nc_u32_e32 v6, s19, v6
	v_add_co_u32 v28, vcc_lo, s8, v28
	v_add_co_ci_u32_e64 v29, null, s9, v29, vcc_lo
	v_ashrrev_i32_e32 v7, 31, v6
	global_load_dwordx2 v[120:121], v[28:29], off
	v_add3_u32 v28, v38, v52, s16
	v_lshlrev_b64 v[6:7], 3, v[6:7]
	v_ashrrev_i32_e32 v29, 31, v28
	v_lshlrev_b64 v[29:30], 3, v[28:29]
	v_add_co_u32 v29, vcc_lo, s8, v29
	v_add_co_ci_u32_e64 v30, null, s9, v30, vcc_lo
	v_add_co_u32 v32, vcc_lo, s8, v32
	v_add_co_ci_u32_e64 v33, null, s9, v33, vcc_lo
	s_clause 0x1
	global_load_dwordx2 v[118:119], v[29:30], off
	global_load_dwordx2 v[94:95], v[32:33], off
	v_add3_u32 v32, v38, v56, s16
	v_ashrrev_i32_e32 v33, 31, v32
	v_add_nc_u32_e32 v31, s19, v32
	v_lshlrev_b64 v[40:41], 3, v[32:33]
	v_ashrrev_i32_e32 v32, 31, v31
	v_add_co_u32 v40, vcc_lo, s8, v40
	v_add_co_ci_u32_e64 v41, null, s9, v41, vcc_lo
	v_add_co_u32 v6, vcc_lo, s8, v6
	v_add_co_ci_u32_e64 v7, null, s9, v7, vcc_lo
	global_load_dwordx2 v[40:41], v[40:41], off
	v_lshlrev_b64 v[31:32], 3, v[31:32]
	global_load_dwordx2 v[122:123], v[6:7], off
	v_add_nc_u32_e32 v6, s19, v28
	v_ashrrev_i32_e32 v7, 31, v6
	v_lshlrev_b64 v[6:7], 3, v[6:7]
	v_add_co_u32 v6, vcc_lo, s8, v6
	v_add_co_ci_u32_e64 v7, null, s9, v7, vcc_lo
	v_add_co_u32 v72, vcc_lo, s8, v72
	v_add_co_ci_u32_e64 v73, null, s9, v73, vcc_lo
	global_load_dwordx2 v[6:7], v[6:7], off
	v_add_co_u32 v31, vcc_lo, s8, v31
	v_add_co_ci_u32_e64 v32, null, s9, v32, vcc_lo
	global_load_dwordx2 v[92:93], v[72:73], off
	s_waitcnt vmcnt(5)
	v_add_f64 v[29:30], v[120:121], -v[118:119]
	s_waitcnt vmcnt(4)
	v_add_f64 v[22:23], v[22:23], -v[94:95]
	v_mul_f64 v[29:30], v[29:30], s[0:1]
	v_mul_f64 v[22:23], v[22:23], s[0:1]
	s_waitcnt vmcnt(3)
	v_add_f64 v[46:47], v[94:95], -v[40:41]
	v_fma_f64 v[29:30], v[46:47], s[2:3], v[29:30]
	v_mul_f64 v[46:47], v[66:67], v[90:91]
	global_load_dwordx2 v[90:91], v[31:32], off
	v_add3_u32 v72, v58, v57, s16
	s_waitcnt vmcnt(2)
	v_add_f64 v[54:55], v[122:123], -v[6:7]
	v_add_f64 v[6:7], v[110:111], -v[6:7]
	v_ashrrev_i32_e32 v73, 31, v72
	s_waitcnt vmcnt(1)
	v_add_f64 v[20:21], v[20:21], -v[92:93]
	v_mul_f64 v[29:30], v[64:65], v[29:30]
	v_mul_f64 v[46:47], v[46:47], v[24:25]
	;; [unrolled: 1-line block ×5, first 2 shown]
	s_waitcnt vmcnt(0)
	v_add_f64 v[31:32], v[92:93], -v[90:91]
	v_fma_f64 v[31:32], v[31:32], s[2:3], v[54:55]
	v_mul_f64 v[31:32], v[46:47], v[31:32]
	v_mul_f64 v[31:32], v[34:35], v[31:32]
	;; [unrolled: 1-line block ×3, first 2 shown]
	v_fma_f64 v[28:29], v[48:49], v[29:30], v[31:32]
	v_add3_u32 v32, v58, v52, s16
	v_ashrrev_i32_e32 v33, 31, v32
	v_add_f64 v[2:3], v[2:3], -v[28:29]
	v_mul_f64 v[2:3], v[2:3], s[0:1]
	v_fma_f64 v[28:29], v[4:5], v[0:1], v[2:3]
	v_add_co_u32 v2, vcc_lo, s14, v18
	v_add_co_ci_u32_e64 v3, null, s15, v19, vcc_lo
	v_mul_f64 v[0:1], v[102:103], v[106:107]
	v_add3_u32 v102, v58, v56, s16
	global_load_dwordx2 v[50:51], v[2:3], off
	v_ashrrev_i32_e32 v103, 31, v102
	s_waitcnt vmcnt(0)
	v_mul_f64 v[76:77], v[0:1], v[50:51]
	v_add3_u32 v0, v58, v53, s16
	v_ashrrev_i32_e32 v1, 31, v0
	v_lshlrev_b64 v[18:19], 3, v[0:1]
	v_add_nc_u32_e32 v0, s19, v0
	v_add_co_u32 v18, vcc_lo, s8, v18
	v_add_co_ci_u32_e64 v19, null, s9, v19, vcc_lo
	v_ashrrev_i32_e32 v1, 31, v0
	global_load_dwordx2 v[30:31], v[18:19], off
	v_lshlrev_b64 v[18:19], 3, v[32:33]
	v_lshlrev_b64 v[0:1], 3, v[0:1]
	v_add_co_u32 v18, vcc_lo, s8, v18
	v_add_co_ci_u32_e64 v19, null, s9, v19, vcc_lo
	global_load_dwordx2 v[46:47], v[18:19], off
	s_waitcnt vmcnt(0)
	v_add_f64 v[18:19], v[30:31], -v[46:47]
	v_mul_f64 v[54:55], v[18:19], s[0:1]
	v_lshlrev_b64 v[18:19], 3, v[72:73]
	v_add_nc_u32_e32 v72, s19, v72
	v_add_co_u32 v18, vcc_lo, s8, v18
	v_add_co_ci_u32_e64 v19, null, s9, v19, vcc_lo
	v_ashrrev_i32_e32 v73, 31, v72
	global_load_dwordx2 v[106:107], v[18:19], off
	v_lshlrev_b64 v[18:19], 3, v[102:103]
	v_mul_f64 v[103:104], v[74:75], v[104:105]
	v_lshlrev_b64 v[72:73], 3, v[72:73]
	v_add_co_u32 v18, vcc_lo, s8, v18
	v_add_co_ci_u32_e64 v19, null, s9, v19, vcc_lo
	v_add_co_u32 v0, vcc_lo, s8, v0
	v_add_co_ci_u32_e64 v1, null, s9, v1, vcc_lo
	s_clause 0x1
	global_load_dwordx2 v[18:19], v[18:19], off
	global_load_dwordx2 v[126:127], v[0:1], off
	v_add_nc_u32_e32 v0, s19, v32
	v_ashrrev_i32_e32 v1, 31, v0
	v_lshlrev_b64 v[0:1], 3, v[0:1]
	v_add_co_u32 v0, vcc_lo, s8, v0
	v_add_co_ci_u32_e64 v1, null, s9, v1, vcc_lo
	v_add_co_u32 v72, vcc_lo, s8, v72
	v_add_co_ci_u32_e64 v73, null, s9, v73, vcc_lo
	global_load_dwordx2 v[32:33], v[0:1], off
	s_waitcnt vmcnt(2)
	v_add_f64 v[124:125], v[106:107], -v[18:19]
	v_fma_f64 v[54:55], v[124:125], s[2:3], v[54:55]
	v_mul_f64 v[124:125], v[103:104], v[50:51]
	global_load_dwordx2 v[104:105], v[72:73], off
	v_add_nc_u32_e32 v72, s19, v102
	s_waitcnt vmcnt(1)
	v_add_f64 v[0:1], v[126:127], -v[32:33]
	v_ashrrev_i32_e32 v73, 31, v72
	v_lshlrev_b64 v[72:73], 3, v[72:73]
	v_add_co_u32 v72, vcc_lo, s8, v72
	v_add_co_ci_u32_e64 v73, null, s9, v73, vcc_lo
	v_mul_f64 v[54:55], v[76:77], v[54:55]
	global_load_dwordx2 v[102:103], v[72:73], off
	v_mul_f64 v[0:1], v[0:1], s[0:1]
	s_waitcnt vmcnt(0)
	v_add_f64 v[72:73], v[104:105], -v[102:103]
	v_fma_f64 v[0:1], v[72:73], s[2:3], v[0:1]
	v_mul_f64 v[72:73], v[86:87], v[88:89]
	v_add3_u32 v88, v39, v53, s16
	v_ashrrev_i32_e32 v89, 31, v88
	v_lshlrev_b64 v[86:87], 3, v[88:89]
	v_mul_f64 v[0:1], v[124:125], v[0:1]
	v_add3_u32 v124, v39, v52, s16
	v_ashrrev_i32_e32 v125, 31, v124
	v_mul_f64 v[0:1], v[34:35], v[0:1]
	v_mul_f64 v[0:1], v[48:49], v[0:1]
	v_fma_f64 v[54:55], v[48:49], v[54:55], v[0:1]
	v_add_co_u32 v0, vcc_lo, s14, v108
	v_add_co_ci_u32_e64 v1, null, s15, v109, vcc_lo
	v_add_co_u32 v86, vcc_lo, s8, v86
	v_add_co_ci_u32_e64 v87, null, s9, v87, vcc_lo
	global_load_dwordx2 v[62:63], v[0:1], off
	v_add3_u32 v0, v39, v57, s16
	global_load_dwordx2 v[108:109], v[86:87], off
	v_lshlrev_b64 v[86:87], 3, v[124:125]
	v_ashrrev_i32_e32 v1, 31, v0
	v_add_co_u32 v86, vcc_lo, s8, v86
	v_add_co_ci_u32_e64 v87, null, s9, v87, vcc_lo
	v_lshlrev_b64 v[52:53], 3, v[0:1]
	v_add_nc_u32_e32 v0, s19, v0
	global_load_dwordx2 v[2:3], v[86:87], off
	v_add_co_u32 v52, vcc_lo, s8, v52
	v_add_co_ci_u32_e64 v53, null, s9, v53, vcc_lo
	v_ashrrev_i32_e32 v1, 31, v0
	global_load_dwordx2 v[4:5], v[52:53], off
	v_lshlrev_b64 v[52:53], 3, v[12:13]
	v_add_nc_u32_e32 v12, s19, v12
	v_lshlrev_b64 v[0:1], 3, v[0:1]
	v_add_co_u32 v52, vcc_lo, s8, v52
	v_add_co_ci_u32_e64 v53, null, s9, v53, vcc_lo
	v_ashrrev_i32_e32 v13, 31, v12
	global_load_dwordx2 v[52:53], v[52:53], off
	v_lshlrev_b64 v[12:13], 3, v[12:13]
	s_waitcnt vmcnt(4)
	v_mul_f64 v[72:73], v[72:73], v[62:63]
	s_waitcnt vmcnt(3)
	v_add_f64 v[30:31], v[30:31], -v[108:109]
	s_waitcnt vmcnt(2)
	v_add_f64 v[86:87], v[108:109], -v[2:3]
	v_add_f64 v[2:3], v[46:47], -v[2:3]
	v_mul_f64 v[86:87], v[86:87], s[0:1]
	s_waitcnt vmcnt(0)
	v_add_f64 v[56:57], v[4:5], -v[52:53]
	v_add_f64 v[4:5], v[106:107], -v[4:5]
	v_add_f64 v[18:19], v[18:19], -v[52:53]
	v_fma_f64 v[56:57], v[56:57], s[2:3], v[86:87]
	v_mul_f64 v[86:87], v[84:85], v[62:63]
	v_add_nc_u32_e32 v84, s19, v88
	v_fma_f64 v[4:5], v[4:5], s[2:3], v[22:23]
	v_ashrrev_i32_e32 v85, 31, v84
	v_lshlrev_b64 v[84:85], 3, v[84:85]
	v_add_co_u32 v84, vcc_lo, s8, v84
	v_add_co_ci_u32_e64 v85, null, s9, v85, vcc_lo
	v_mul_f64 v[56:57], v[72:73], v[56:57]
	global_load_dwordx2 v[88:89], v[84:85], off
	v_add_nc_u32_e32 v84, s19, v124
	v_ashrrev_i32_e32 v85, 31, v84
	v_lshlrev_b64 v[84:85], 3, v[84:85]
	v_add_co_u32 v84, vcc_lo, s8, v84
	v_add_co_ci_u32_e64 v85, null, s9, v85, vcc_lo
	v_add_co_u32 v0, vcc_lo, s8, v0
	v_add_co_ci_u32_e64 v1, null, s9, v1, vcc_lo
	global_load_dwordx2 v[124:125], v[84:85], off
	v_add_co_u32 v12, vcc_lo, s8, v12
	v_add_co_ci_u32_e64 v13, null, s9, v13, vcc_lo
	s_clause 0x1
	global_load_dwordx2 v[0:1], v[0:1], off
	global_load_dwordx2 v[12:13], v[12:13], off
	s_waitcnt vmcnt(2)
	v_add_f64 v[84:85], v[88:89], -v[124:125]
	v_add_f64 v[32:33], v[32:33], -v[124:125]
	s_waitcnt vmcnt(0)
	v_add_f64 v[80:81], v[0:1], -v[12:13]
	v_add_f64 v[0:1], v[104:105], -v[0:1]
	v_mul_f64 v[84:85], v[84:85], s[0:1]
	v_fma_f64 v[6:7], v[32:33], s[2:3], v[6:7]
	v_fma_f64 v[0:1], v[0:1], s[2:3], v[20:21]
	;; [unrolled: 1-line block ×3, first 2 shown]
	v_mul_f64 v[80:81], v[86:87], v[80:81]
	v_mul_f64 v[34:35], v[34:35], v[80:81]
	;; [unrolled: 1-line block ×3, first 2 shown]
	v_fma_f64 v[34:35], v[48:49], v[56:57], v[34:35]
	v_add_f64 v[56:57], v[114:115], -v[120:121]
	v_add_f64 v[34:35], v[54:55], -v[34:35]
	v_mul_f64 v[56:57], v[56:57], s[0:1]
	v_fma_f64 v[28:29], v[34:35], s[2:3], v[28:29]
	buffer_load_dword v34, off, s[28:31], 0 offset:236 ; 4-byte Folded Reload
	v_fma_f64 v[30:31], v[30:31], s[2:3], v[56:57]
	v_add_f64 v[56:57], v[116:117], -v[122:123]
	v_mul_f64 v[56:57], v[56:57], s[0:1]
	s_waitcnt vmcnt(0)
	v_add_nc_u32_e32 v34, s18, v34
	v_ashrrev_i32_e32 v35, 31, v34
	v_lshlrev_b64 v[54:55], 3, v[34:35]
	v_subrev_nc_u32_e32 v34, s19, v34
	v_ashrrev_i32_e32 v35, 31, v34
	v_add_co_u32 v54, vcc_lo, s14, v54
	v_add_co_ci_u32_e64 v55, null, s15, v55, vcc_lo
	v_lshlrev_b64 v[34:35], 3, v[34:35]
	global_load_dwordx2 v[54:55], v[54:55], off
	s_clause 0x1
	buffer_load_dword v80, off, s[28:31], 0 offset:240
	buffer_load_dword v81, off, s[28:31], 0 offset:244
	v_add_co_u32 v34, vcc_lo, s14, v34
	v_add_co_ci_u32_e64 v35, null, s15, v35, vcc_lo
	global_load_dwordx2 v[34:35], v[34:35], off
	s_waitcnt vmcnt(1)
	v_mul_f64 v[54:55], v[80:81], v[54:55]
	s_waitcnt vmcnt(0)
	v_mul_f64 v[34:35], v[80:81], v[34:35]
	v_mul_f64 v[54:55], v[60:61], v[54:55]
	;; [unrolled: 1-line block ×3, first 2 shown]
	v_add_f64 v[60:61], v[126:127], -v[88:89]
	v_fma_f64 v[56:57], v[60:61], s[2:3], v[56:57]
	v_mul_f64 v[34:35], v[56:57], v[34:35]
	s_clause 0x1
	buffer_load_dword v56, off, s[28:31], 0 offset:228
	buffer_load_dword v57, off, s[28:31], 0 offset:232
	s_waitcnt vmcnt(0)
	v_mul_f64 v[34:35], v[56:57], v[34:35]
	v_add_f64 v[56:57], v[112:113], -v[118:119]
	v_fma_f64 v[30:31], v[30:31], v[54:55], v[34:35]
	buffer_load_dword v34, off, s[28:31], 0 offset:224 ; 4-byte Folded Reload
	v_mul_f64 v[56:57], v[56:57], s[0:1]
	v_fma_f64 v[2:3], v[2:3], s[2:3], v[56:57]
	s_waitcnt vmcnt(0)
	v_add_nc_u32_e32 v34, s18, v34
	v_ashrrev_i32_e32 v35, 31, v34
	v_lshlrev_b64 v[54:55], 3, v[34:35]
	v_subrev_nc_u32_e32 v34, s19, v34
	v_ashrrev_i32_e32 v35, 31, v34
	v_add_co_u32 v54, vcc_lo, s14, v54
	v_add_co_ci_u32_e64 v55, null, s15, v55, vcc_lo
	v_lshlrev_b64 v[34:35], 3, v[34:35]
	global_load_dwordx2 v[54:55], v[54:55], off
	s_clause 0x3
	buffer_load_dword v60, off, s[28:31], 0 offset:200
	buffer_load_dword v61, off, s[28:31], 0 offset:204
	;; [unrolled: 1-line block ×4, first 2 shown]
	v_add_co_u32 v34, vcc_lo, s14, v34
	v_add_co_ci_u32_e64 v35, null, s15, v35, vcc_lo
	global_load_dwordx2 v[34:35], v[34:35], off
	s_waitcnt vmcnt(3)
	v_mul_f64 v[54:55], v[60:61], v[54:55]
	s_waitcnt vmcnt(0)
	v_mul_f64 v[34:35], v[60:61], v[34:35]
	v_mul_f64 v[54:55], v[80:81], v[54:55]
	;; [unrolled: 1-line block ×5, first 2 shown]
	v_fma_f64 v[2:3], v[2:3], v[54:55], v[6:7]
	buffer_load_dword v6, off, s[28:31], 0 offset:180 ; 4-byte Folded Reload
	v_add_f64 v[2:3], v[30:31], -v[2:3]
	v_mul_f64 v[2:3], v[2:3], s[0:1]
	s_waitcnt vmcnt(0)
	v_add_nc_u32_e32 v6, s18, v6
	v_ashrrev_i32_e32 v7, 31, v6
	v_lshlrev_b64 v[30:31], 3, v[6:7]
	v_subrev_nc_u32_e32 v6, s19, v6
	v_ashrrev_i32_e32 v7, 31, v6
	v_add_co_u32 v30, vcc_lo, s14, v30
	v_add_co_ci_u32_e64 v31, null, s15, v31, vcc_lo
	v_lshlrev_b64 v[6:7], 3, v[6:7]
	global_load_dwordx2 v[30:31], v[30:31], off
	s_clause 0x3
	buffer_load_dword v32, off, s[28:31], 0 offset:184
	buffer_load_dword v33, off, s[28:31], 0 offset:188
	;; [unrolled: 1-line block ×4, first 2 shown]
	v_add_co_u32 v6, vcc_lo, s14, v6
	v_add_co_ci_u32_e64 v7, null, s15, v7, vcc_lo
	global_load_dwordx2 v[6:7], v[6:7], off
	s_waitcnt vmcnt(3)
	v_mul_f64 v[30:31], v[32:33], v[30:31]
	s_waitcnt vmcnt(0)
	v_mul_f64 v[6:7], v[32:33], v[6:7]
	v_mul_f64 v[30:31], v[34:35], v[30:31]
	;; [unrolled: 1-line block ×4, first 2 shown]
	v_add_f64 v[7:8], v[8:9], -v[40:41]
	v_add_f64 v[9:10], v[10:11], -v[90:91]
	;; [unrolled: 1-line block ×3, first 2 shown]
	v_mul_f64 v[0:1], v[36:37], v[0:1]
	v_mul_f64 v[7:8], v[7:8], s[0:1]
	;; [unrolled: 1-line block ×3, first 2 shown]
	v_fma_f64 v[0:1], v[4:5], v[30:31], v[0:1]
	buffer_load_dword v4, off, s[28:31], 0 offset:172 ; 4-byte Folded Reload
	v_fma_f64 v[7:8], v[18:19], s[2:3], v[7:8]
	v_fma_f64 v[9:10], v[11:12], s[2:3], v[9:10]
	s_waitcnt vmcnt(0)
	v_add_nc_u32_e32 v4, s18, v4
	v_subrev_nc_u32_e32 v18, s19, v4
	v_ashrrev_i32_e32 v5, 31, v4
	v_ashrrev_i32_e32 v19, 31, v18
	v_lshlrev_b64 v[5:6], 3, v[4:5]
	v_lshlrev_b64 v[18:19], 3, v[18:19]
	v_add_co_u32 v5, vcc_lo, s14, v5
	v_add_co_ci_u32_e64 v6, null, s15, v6, vcc_lo
	v_add_co_u32 v18, vcc_lo, s14, v18
	v_add_co_ci_u32_e64 v19, null, s15, v19, vcc_lo
	global_load_dwordx2 v[5:6], v[5:6], off
	s_clause 0x3
	buffer_load_dword v20, off, s[28:31], 0 offset:156
	buffer_load_dword v21, off, s[28:31], 0 offset:160
	;; [unrolled: 1-line block ×4, first 2 shown]
	global_load_dwordx2 v[18:19], v[18:19], off
	s_clause 0x3
	buffer_load_dword v34, off, s[28:31], 0 offset:176
	buffer_load_dword v46, off, s[28:31], 0 offset:148
	;; [unrolled: 1-line block ×4, first 2 shown]
	s_waitcnt vmcnt(7)
	v_mul_f64 v[5:6], v[20:21], v[5:6]
	s_waitcnt vmcnt(4)
	v_mul_f64 v[18:19], v[20:21], v[18:19]
	v_mul_f64 v[5:6], v[22:23], v[5:6]
	;; [unrolled: 1-line block ×5, first 2 shown]
	v_fma_f64 v[4:5], v[7:8], v[5:6], v[9:10]
	s_waitcnt vmcnt(3)
	v_add3_u32 v10, v34, v59, s17
	v_ashrrev_i32_e32 v11, 31, v10
	v_add_f64 v[0:1], v[0:1], -v[4:5]
	s_waitcnt vmcnt(1)
	v_add3_u32 v5, v47, v59, s17
	v_ashrrev_i32_e32 v6, 31, v5
	v_lshlrev_b64 v[6:7], 3, v[5:6]
	v_fma_f64 v[0:1], v[0:1], s[2:3], v[2:3]
	v_mul_f64 v[2:3], v[96:97], v[16:17]
	v_fma_f64 v[0:1], v[48:49], v[0:1], v[28:29]
	v_mul_f64 v[12:13], v[2:3], v[14:15]
	v_lshlrev_b64 v[2:3], 3, v[10:11]
	v_subrev_nc_u32_e32 v10, s16, v10
	v_add_co_u32 v2, vcc_lo, s8, v2
	v_add_co_ci_u32_e64 v3, null, s9, v3, vcc_lo
	v_ashrrev_i32_e32 v11, 31, v10
	global_load_dwordx2 v[8:9], v[2:3], off
	v_add3_u32 v2, v46, v59, s17
	v_lshlrev_b64 v[10:11], 3, v[10:11]
	v_ashrrev_i32_e32 v3, 31, v2
	v_lshlrev_b64 v[3:4], 3, v[2:3]
	v_add_co_u32 v3, vcc_lo, s8, v3
	v_add_co_ci_u32_e64 v4, null, s9, v4, vcc_lo
	v_add_co_u32 v6, vcc_lo, s8, v6
	v_add_co_ci_u32_e64 v7, null, s9, v7, vcc_lo
	s_clause 0x1
	global_load_dwordx2 v[32:33], v[3:4], off
	global_load_dwordx2 v[84:85], v[6:7], off
	s_waitcnt vmcnt(3)
	v_add3_u32 v6, v80, v59, s17
	v_ashrrev_i32_e32 v7, 31, v6
	v_lshlrev_b64 v[14:15], 3, v[6:7]
	v_add_co_u32 v14, vcc_lo, s8, v14
	v_add_co_ci_u32_e64 v15, null, s9, v15, vcc_lo
	v_add_co_u32 v10, vcc_lo, s8, v10
	v_add_co_ci_u32_e64 v11, null, s9, v11, vcc_lo
	s_clause 0x1
	global_load_dwordx2 v[16:17], v[14:15], off
	global_load_dwordx2 v[54:55], v[10:11], off
	v_subrev_nc_u32_e32 v10, s16, v2
	v_ashrrev_i32_e32 v11, 31, v10
	v_lshlrev_b64 v[10:11], 3, v[10:11]
	v_add_co_u32 v10, vcc_lo, s8, v10
	v_add_co_ci_u32_e64 v11, null, s9, v11, vcc_lo
	global_load_dwordx2 v[10:11], v[10:11], off
	s_waitcnt vmcnt(4)
	v_add_f64 v[3:4], v[8:9], -v[32:33]
	v_mul_f64 v[3:4], v[3:4], s[0:1]
	s_waitcnt vmcnt(2)
	v_add_f64 v[14:15], v[84:85], -v[16:17]
	v_fma_f64 v[3:4], v[14:15], s[2:3], v[3:4]
	v_mul_f64 v[3:4], v[12:13], v[3:4]
	s_waitcnt vmcnt(0)
	v_add_f64 v[12:13], v[54:55], -v[10:11]
	v_mul_f64 v[3:4], v[42:43], v[3:4]
	v_mul_f64 v[14:15], v[12:13], s[0:1]
	v_subrev_nc_u32_e32 v12, s16, v5
	v_subrev_nc_u32_e32 v5, s16, v6
	v_ashrrev_i32_e32 v13, 31, v12
	v_ashrrev_i32_e32 v6, 31, v5
	v_lshlrev_b64 v[12:13], 3, v[12:13]
	v_lshlrev_b64 v[5:6], 3, v[5:6]
	v_add_co_u32 v12, vcc_lo, s8, v12
	v_add_co_ci_u32_e64 v13, null, s9, v13, vcc_lo
	v_add_co_u32 v5, vcc_lo, s8, v5
	v_add_co_ci_u32_e64 v6, null, s9, v6, vcc_lo
	s_clause 0x1
	global_load_dwordx2 v[18:19], v[12:13], off
	global_load_dwordx2 v[12:13], v[5:6], off
	s_waitcnt vmcnt(0)
	v_add_f64 v[5:6], v[18:19], -v[12:13]
	v_fma_f64 v[5:6], v[5:6], s[2:3], v[14:15]
	v_mul_f64 v[5:6], v[26:27], v[5:6]
	v_mul_f64 v[5:6], v[78:79], v[5:6]
	v_fma_f64 v[2:3], v[78:79], v[3:4], v[5:6]
	v_add3_u32 v6, v34, v38, s17
	v_mul_f64 v[4:5], v[66:67], v[100:101]
	v_ashrrev_i32_e32 v7, 31, v6
	v_lshlrev_b64 v[14:15], 3, v[6:7]
	v_add_co_u32 v14, vcc_lo, s8, v14
	v_add_co_ci_u32_e64 v15, null, s9, v15, vcc_lo
	global_load_dwordx2 v[60:61], v[14:15], off
	v_add3_u32 v14, v46, v38, s17
	v_mul_f64 v[4:5], v[4:5], v[24:25]
	v_add3_u32 v24, v47, v38, s17
	v_ashrrev_i32_e32 v15, 31, v14
	v_ashrrev_i32_e32 v25, 31, v24
	v_lshlrev_b64 v[20:21], 3, v[14:15]
	v_lshlrev_b64 v[22:23], 3, v[24:25]
	v_add3_u32 v25, v80, v38, s17
	v_mov_b32_e32 v38, v34
	v_add_co_u32 v20, vcc_lo, s8, v20
	v_add_co_ci_u32_e64 v21, null, s9, v21, vcc_lo
	v_ashrrev_i32_e32 v26, 31, v25
	v_add_co_u32 v22, vcc_lo, s8, v22
	global_load_dwordx2 v[56:57], v[20:21], off
	v_add_co_ci_u32_e64 v23, null, s9, v23, vcc_lo
	v_lshlrev_b64 v[26:27], 3, v[25:26]
	global_load_dwordx2 v[22:23], v[22:23], off
	v_add_co_u32 v26, vcc_lo, s8, v26
	v_add_co_ci_u32_e64 v27, null, s9, v27, vcc_lo
	global_load_dwordx2 v[28:29], v[26:27], off
	s_waitcnt vmcnt(3)
	v_add_f64 v[8:9], v[8:9], -v[60:61]
	v_mul_f64 v[8:9], v[8:9], s[0:1]
	s_waitcnt vmcnt(2)
	v_add_f64 v[20:21], v[60:61], -v[56:57]
	s_waitcnt vmcnt(0)
	v_add_f64 v[26:27], v[22:23], -v[28:29]
	v_mul_f64 v[20:21], v[20:21], s[0:1]
	v_fma_f64 v[20:21], v[26:27], s[2:3], v[20:21]
	v_mul_f64 v[4:5], v[4:5], v[20:21]
	v_mul_f64 v[30:31], v[42:43], v[4:5]
	v_subrev_nc_u32_e32 v4, s16, v6
	v_ashrrev_i32_e32 v5, 31, v4
	v_lshlrev_b64 v[4:5], 3, v[4:5]
	v_add_co_u32 v4, vcc_lo, s8, v4
	v_add_co_ci_u32_e64 v5, null, s9, v5, vcc_lo
	global_load_dwordx2 v[66:67], v[4:5], off
	v_subrev_nc_u32_e32 v4, s16, v14
	v_subrev_nc_u32_e32 v14, s16, v24
	v_add3_u32 v24, v46, v58, s17
	v_ashrrev_i32_e32 v5, 31, v4
	v_ashrrev_i32_e32 v15, 31, v14
	v_lshlrev_b64 v[4:5], 3, v[4:5]
	v_lshlrev_b64 v[14:15], 3, v[14:15]
	v_add_co_u32 v4, vcc_lo, s8, v4
	v_add_co_ci_u32_e64 v5, null, s9, v5, vcc_lo
	v_add_co_u32 v14, vcc_lo, s8, v14
	v_add_co_ci_u32_e64 v15, null, s9, v15, vcc_lo
	s_clause 0x1
	global_load_dwordx2 v[4:5], v[4:5], off
	global_load_dwordx2 v[20:21], v[14:15], off
	v_subrev_nc_u32_e32 v14, s16, v25
	v_ashrrev_i32_e32 v25, 31, v24
	v_ashrrev_i32_e32 v15, 31, v14
	v_lshlrev_b64 v[14:15], 3, v[14:15]
	v_add_co_u32 v14, vcc_lo, s8, v14
	v_add_co_ci_u32_e64 v15, null, s9, v15, vcc_lo
	global_load_dwordx2 v[26:27], v[14:15], off
	s_waitcnt vmcnt(2)
	v_add_f64 v[6:7], v[66:67], -v[4:5]
	v_add_f64 v[4:5], v[10:11], -v[4:5]
	v_mul_f64 v[6:7], v[6:7], s[0:1]
	v_mul_f64 v[4:5], v[4:5], s[0:1]
	s_waitcnt vmcnt(0)
	v_add_f64 v[14:15], v[20:21], -v[26:27]
	v_add_f64 v[12:13], v[12:13], -v[26:27]
	v_fma_f64 v[6:7], v[14:15], s[2:3], v[6:7]
	v_mul_f64 v[12:13], v[12:13], s[0:1]
	v_mul_f64 v[6:7], v[64:65], v[6:7]
	;; [unrolled: 1-line block ×3, first 2 shown]
	v_fma_f64 v[6:7], v[78:79], v[30:31], v[6:7]
	v_add_f64 v[2:3], v[2:3], -v[6:7]
	v_fma_f64 v[6:7], v[2:3], s[0:1], v[0:1]
	v_add3_u32 v2, v34, v58, s17
	v_add3_u32 v34, v47, v58, s17
	v_mul_f64 v[0:1], v[74:75], v[98:99]
	v_ashrrev_i32_e32 v3, 31, v2
	v_ashrrev_i32_e32 v35, 31, v34
	v_lshlrev_b64 v[14:15], 3, v[2:3]
	v_subrev_nc_u32_e32 v2, s16, v2
	v_add_co_u32 v14, vcc_lo, s8, v14
	v_add_co_ci_u32_e64 v15, null, s9, v15, vcc_lo
	v_ashrrev_i32_e32 v3, 31, v2
	global_load_dwordx2 v[70:71], v[14:15], off
	v_lshlrev_b64 v[14:15], 3, v[24:25]
	v_lshlrev_b64 v[2:3], 3, v[2:3]
	v_mul_f64 v[0:1], v[0:1], v[50:51]
	v_add_co_u32 v14, vcc_lo, s8, v14
	v_add_co_ci_u32_e64 v15, null, s9, v15, vcc_lo
	global_load_dwordx2 v[68:69], v[14:15], off
	s_waitcnt vmcnt(0)
	v_add_f64 v[14:15], v[70:71], -v[68:69]
	v_mul_f64 v[30:31], v[14:15], s[0:1]
	v_lshlrev_b64 v[14:15], 3, v[34:35]
	v_add3_u32 v35, v80, v58, s17
	v_add3_u32 v80, v80, v39, s17
	v_add_co_u32 v14, vcc_lo, s8, v14
	v_add_co_ci_u32_e64 v15, null, s9, v15, vcc_lo
	v_ashrrev_i32_e32 v36, 31, v35
	v_ashrrev_i32_e32 v81, 31, v80
	global_load_dwordx2 v[40:41], v[14:15], off
	v_lshlrev_b64 v[14:15], 3, v[35:36]
	v_add_co_u32 v14, vcc_lo, s8, v14
	v_add_co_ci_u32_e64 v15, null, s9, v15, vcc_lo
	v_add_co_u32 v2, vcc_lo, s8, v2
	v_add_co_ci_u32_e64 v3, null, s9, v3, vcc_lo
	s_clause 0x1
	global_load_dwordx2 v[14:15], v[14:15], off
	global_load_dwordx2 v[74:75], v[2:3], off
	v_subrev_nc_u32_e32 v2, s16, v24
	v_ashrrev_i32_e32 v3, 31, v2
	v_lshlrev_b64 v[2:3], 3, v[2:3]
	v_add_co_u32 v2, vcc_lo, s8, v2
	v_add_co_ci_u32_e64 v3, null, s9, v3, vcc_lo
	global_load_dwordx2 v[52:53], v[2:3], off
	s_waitcnt vmcnt(2)
	v_add_f64 v[36:37], v[40:41], -v[14:15]
	v_fma_f64 v[30:31], v[36:37], s[2:3], v[30:31]
	v_add3_u32 v36, v46, v39, s17
	v_add3_u32 v46, v47, v39, s17
	s_waitcnt vmcnt(0)
	v_add_f64 v[2:3], v[74:75], -v[52:53]
	v_ashrrev_i32_e32 v37, 31, v36
	v_ashrrev_i32_e32 v47, 31, v46
	v_lshlrev_b64 v[50:51], 3, v[46:47]
	v_mul_f64 v[0:1], v[0:1], v[30:31]
	v_mul_f64 v[24:25], v[2:3], s[0:1]
	v_subrev_nc_u32_e32 v2, s16, v34
	v_ashrrev_i32_e32 v3, 31, v2
	v_lshlrev_b64 v[2:3], 3, v[2:3]
	v_add_co_u32 v2, vcc_lo, s8, v2
	v_add_co_ci_u32_e64 v3, null, s9, v3, vcc_lo
	v_mul_f64 v[0:1], v[42:43], v[0:1]
	global_load_dwordx2 v[48:49], v[2:3], off
	v_subrev_nc_u32_e32 v2, s16, v35
	v_ashrrev_i32_e32 v3, 31, v2
	v_lshlrev_b64 v[2:3], 3, v[2:3]
	v_add_co_u32 v2, vcc_lo, s8, v2
	v_add_co_ci_u32_e64 v3, null, s9, v3, vcc_lo
	global_load_dwordx2 v[2:3], v[2:3], off
	s_waitcnt vmcnt(0)
	v_add_f64 v[30:31], v[48:49], -v[2:3]
	v_fma_f64 v[24:25], v[30:31], s[2:3], v[24:25]
	v_add3_u32 v30, v38, v39, s17
	v_lshlrev_b64 v[37:38], 3, v[36:37]
	v_ashrrev_i32_e32 v31, 31, v30
	v_lshlrev_b64 v[34:35], 3, v[30:31]
	v_add_co_u32 v34, vcc_lo, s8, v34
	v_add_co_ci_u32_e64 v35, null, s9, v35, vcc_lo
	v_add_co_u32 v37, vcc_lo, s8, v37
	v_mul_f64 v[24:25], v[76:77], v[24:25]
	v_add_co_ci_u32_e64 v38, null, s9, v38, vcc_lo
	v_add_co_u32 v50, vcc_lo, s8, v50
	v_add_co_ci_u32_e64 v51, null, s9, v51, vcc_lo
	v_mul_f64 v[24:25], v[78:79], v[24:25]
	v_fma_f64 v[24:25], v[78:79], v[0:1], v[24:25]
	s_clause 0x1
	buffer_load_dword v0, off, s[28:31], 0 offset:256
	buffer_load_dword v1, off, s[28:31], 0 offset:260
	s_clause 0x2
	global_load_dwordx2 v[34:35], v[34:35], off
	global_load_dwordx2 v[76:77], v[37:38], off
	;; [unrolled: 1-line block ×3, first 2 shown]
	v_lshlrev_b64 v[50:51], 3, v[80:81]
	v_add_co_u32 v50, vcc_lo, s8, v50
	v_add_co_ci_u32_e64 v51, null, s9, v51, vcc_lo
	global_load_dwordx2 v[50:51], v[50:51], off
	s_waitcnt vmcnt(4)
	v_mul_f64 v[0:1], v[0:1], v[82:83]
	s_waitcnt vmcnt(2)
	v_add_f64 v[37:38], v[34:35], -v[76:77]
	s_waitcnt vmcnt(0)
	v_add_f64 v[14:15], v[14:15], -v[50:51]
	v_mul_f64 v[0:1], v[0:1], v[62:63]
	v_add_f64 v[62:63], v[58:59], -v[50:51]
	v_mul_f64 v[37:38], v[37:38], s[0:1]
	v_fma_f64 v[37:38], v[62:63], s[2:3], v[37:38]
	v_mul_f64 v[0:1], v[0:1], v[37:38]
	v_mul_f64 v[37:38], v[42:43], v[0:1]
	v_subrev_nc_u32_e32 v0, s16, v30
	v_ashrrev_i32_e32 v1, 31, v0
	v_lshlrev_b64 v[0:1], 3, v[0:1]
	v_add_co_u32 v0, vcc_lo, s8, v0
	v_add_co_ci_u32_e64 v1, null, s9, v1, vcc_lo
	global_load_dwordx2 v[30:31], v[0:1], off
	v_subrev_nc_u32_e32 v0, s16, v36
	v_ashrrev_i32_e32 v1, 31, v0
	v_lshlrev_b64 v[0:1], 3, v[0:1]
	v_add_co_u32 v0, vcc_lo, s8, v0
	v_add_co_ci_u32_e64 v1, null, s9, v1, vcc_lo
	global_load_dwordx2 v[64:65], v[0:1], off
	s_waitcnt vmcnt(0)
	v_add_f64 v[0:1], v[30:31], -v[64:65]
	v_add_f64 v[30:31], v[74:75], -v[30:31]
	;; [unrolled: 1-line block ×3, first 2 shown]
	v_mul_f64 v[42:43], v[0:1], s[0:1]
	v_subrev_nc_u32_e32 v0, s16, v46
	v_fma_f64 v[4:5], v[10:11], s[2:3], v[4:5]
	v_add_f64 v[10:11], v[40:41], -v[58:59]
	v_ashrrev_i32_e32 v1, 31, v0
	v_lshlrev_b64 v[0:1], 3, v[0:1]
	v_add_co_u32 v0, vcc_lo, s8, v0
	v_add_co_ci_u32_e64 v1, null, s9, v1, vcc_lo
	global_load_dwordx2 v[62:63], v[0:1], off
	v_subrev_nc_u32_e32 v0, s16, v80
	v_ashrrev_i32_e32 v1, 31, v0
	v_lshlrev_b64 v[0:1], 3, v[0:1]
	v_add_co_u32 v0, vcc_lo, s8, v0
	v_add_co_ci_u32_e64 v1, null, s9, v1, vcc_lo
	global_load_dwordx2 v[0:1], v[0:1], off
	s_waitcnt vmcnt(0)
	v_add_f64 v[46:47], v[62:63], -v[0:1]
	v_add_f64 v[0:1], v[2:3], -v[0:1]
	v_fma_f64 v[42:43], v[46:47], s[2:3], v[42:43]
	v_fma_f64 v[0:1], v[0:1], s[2:3], v[12:13]
	v_mul_f64 v[42:43], v[72:73], v[42:43]
	v_mul_f64 v[42:43], v[78:79], v[42:43]
	v_fma_f64 v[36:37], v[78:79], v[37:38], v[42:43]
	v_add_f64 v[24:25], v[24:25], -v[36:37]
	v_fma_f64 v[42:43], v[24:25], s[2:3], v[6:7]
	s_clause 0x1
	buffer_load_dword v6, off, s[28:31], 0 offset:136
	buffer_load_dword v7, off, s[28:31], 0 offset:140
	v_add_f64 v[24:25], v[70:71], -v[34:35]
	v_fma_f64 v[8:9], v[24:25], s[2:3], v[8:9]
	v_add_f64 v[24:25], v[54:55], -v[66:67]
	v_mul_f64 v[24:25], v[24:25], s[0:1]
	v_fma_f64 v[24:25], v[30:31], s[2:3], v[24:25]
	v_add_f64 v[30:31], v[68:69], -v[76:77]
	s_waitcnt vmcnt(1)
	v_add_co_u32 v6, vcc_lo, s14, v6
	s_waitcnt vmcnt(0)
	v_add_co_ci_u32_e64 v7, null, s15, v7, vcc_lo
	global_load_dwordx2 v[6:7], v[6:7], off
	s_clause 0x3
	buffer_load_dword v38, off, s[28:31], 0 offset:128
	buffer_load_dword v39, off, s[28:31], 0 offset:132
	;; [unrolled: 1-line block ×4, first 2 shown]
	s_waitcnt vmcnt(2)
	v_mul_f64 v[6:7], v[38:39], v[6:7]
	s_waitcnt vmcnt(0)
	v_mul_f64 v[6:7], v[36:37], v[6:7]
	v_mul_f64 v[6:7], v[8:9], v[6:7]
	buffer_load_dword v8, off, s[28:31], 0 offset:108 ; 4-byte Folded Reload
	s_waitcnt vmcnt(0)
	v_add_nc_u32_e32 v8, s18, v8
	v_ashrrev_i32_e32 v9, 31, v8
	v_lshlrev_b64 v[8:9], 3, v[8:9]
	v_add_co_u32 v8, vcc_lo, s14, v8
	v_add_co_ci_u32_e64 v9, null, s15, v9, vcc_lo
	global_load_dwordx2 v[8:9], v[8:9], off
	s_waitcnt vmcnt(0)
	v_mul_f64 v[8:9], v[38:39], v[8:9]
	v_mul_f64 v[8:9], v[36:37], v[8:9]
	;; [unrolled: 1-line block ×3, first 2 shown]
	s_clause 0x1
	buffer_load_dword v24, off, s[28:31], 0 offset:112
	buffer_load_dword v25, off, s[28:31], 0 offset:116
	s_waitcnt vmcnt(0)
	v_fma_f64 v[8:9], v[24:25], v[6:7], v[8:9]
	s_clause 0x1
	buffer_load_dword v6, off, s[28:31], 0 offset:100
	buffer_load_dword v7, off, s[28:31], 0 offset:104
	v_add_f64 v[24:25], v[32:33], -v[56:57]
	v_mul_f64 v[24:25], v[24:25], s[0:1]
	v_fma_f64 v[24:25], v[30:31], s[2:3], v[24:25]
	s_waitcnt vmcnt(1)
	v_add_co_u32 v6, vcc_lo, s14, v6
	s_waitcnt vmcnt(0)
	v_add_co_ci_u32_e64 v7, null, s15, v7, vcc_lo
	global_load_dwordx2 v[6:7], v[6:7], off
	s_clause 0x3
	buffer_load_dword v34, off, s[28:31], 0 offset:80
	buffer_load_dword v35, off, s[28:31], 0 offset:84
	;; [unrolled: 1-line block ×4, first 2 shown]
	s_waitcnt vmcnt(2)
	v_mul_f64 v[6:7], v[34:35], v[6:7]
	s_waitcnt vmcnt(0)
	v_mul_f64 v[6:7], v[36:37], v[6:7]
	v_mul_f64 v[6:7], v[24:25], v[6:7]
	buffer_load_dword v24, off, s[28:31], 0 offset:96 ; 4-byte Folded Reload
	s_waitcnt vmcnt(0)
	v_add_nc_u32_e32 v24, s18, v24
	v_ashrrev_i32_e32 v25, 31, v24
	v_lshlrev_b64 v[24:25], 3, v[24:25]
	v_add_co_u32 v24, vcc_lo, s14, v24
	v_add_co_ci_u32_e64 v25, null, s15, v25, vcc_lo
	global_load_dwordx2 v[24:25], v[24:25], off
	s_clause 0x3
	buffer_load_dword v30, off, s[28:31], 0 offset:56
	buffer_load_dword v31, off, s[28:31], 0 offset:60
	;; [unrolled: 1-line block ×4, first 2 shown]
	s_waitcnt vmcnt(4)
	v_mul_f64 v[24:25], v[34:35], v[24:25]
	v_mul_f64 v[24:25], v[36:37], v[24:25]
	;; [unrolled: 1-line block ×3, first 2 shown]
	s_waitcnt vmcnt(2)
	v_fma_f64 v[4:5], v[30:31], v[6:7], v[4:5]
	s_clause 0x1
	buffer_load_dword v6, off, s[28:31], 0 offset:72
	buffer_load_dword v7, off, s[28:31], 0 offset:76
	v_add_f64 v[4:5], v[8:9], -v[4:5]
	v_add_f64 v[8:9], v[84:85], -v[22:23]
	v_mul_f64 v[4:5], v[4:5], s[0:1]
	v_mul_f64 v[8:9], v[8:9], s[0:1]
	v_fma_f64 v[8:9], v[10:11], s[2:3], v[8:9]
	v_add_f64 v[10:11], v[18:19], -v[20:21]
	v_add_f64 v[18:19], v[48:49], -v[62:63]
	v_mul_f64 v[10:11], v[10:11], s[0:1]
	v_fma_f64 v[10:11], v[18:19], s[2:3], v[10:11]
	s_waitcnt vmcnt(1)
	v_add_co_u32 v6, vcc_lo, s14, v6
	s_waitcnt vmcnt(0)
	v_add_co_ci_u32_e64 v7, null, s15, v7, vcc_lo
	global_load_dwordx2 v[6:7], v[6:7], off
	s_clause 0x3
	buffer_load_dword v24, off, s[28:31], 0 offset:40
	buffer_load_dword v25, off, s[28:31], 0 offset:44
	;; [unrolled: 1-line block ×4, first 2 shown]
	s_waitcnt vmcnt(2)
	v_mul_f64 v[6:7], v[24:25], v[6:7]
	s_waitcnt vmcnt(0)
	v_mul_f64 v[6:7], v[30:31], v[6:7]
	v_mul_f64 v[6:7], v[8:9], v[6:7]
	buffer_load_dword v8, off, s[28:31], 0 offset:36 ; 4-byte Folded Reload
	s_waitcnt vmcnt(0)
	v_add_nc_u32_e32 v8, s18, v8
	v_ashrrev_i32_e32 v9, 31, v8
	v_lshlrev_b64 v[8:9], 3, v[8:9]
	v_add_co_u32 v8, vcc_lo, s14, v8
	v_add_co_ci_u32_e64 v9, null, s15, v9, vcc_lo
	global_load_dwordx2 v[8:9], v[8:9], off
	s_waitcnt vmcnt(0)
	v_mul_f64 v[8:9], v[24:25], v[8:9]
	v_mul_f64 v[8:9], v[30:31], v[8:9]
	;; [unrolled: 1-line block ×3, first 2 shown]
	v_add_f64 v[10:11], v[16:17], -v[28:29]
	v_fma_f64 v[6:7], v[44:45], v[6:7], v[8:9]
	s_clause 0x1
	buffer_load_dword v8, off, s[28:31], 0 offset:28
	buffer_load_dword v9, off, s[28:31], 0 offset:32
	v_mul_f64 v[10:11], v[10:11], s[0:1]
	v_fma_f64 v[10:11], v[14:15], s[2:3], v[10:11]
	s_waitcnt vmcnt(1)
	v_add_co_u32 v8, vcc_lo, s14, v8
	s_waitcnt vmcnt(0)
	v_add_co_ci_u32_e64 v9, null, s15, v9, vcc_lo
	global_load_dwordx2 v[8:9], v[8:9], off
	s_clause 0x3
	buffer_load_dword v18, off, s[28:31], 0 offset:12
	buffer_load_dword v19, off, s[28:31], 0 offset:16
	;; [unrolled: 1-line block ×4, first 2 shown]
	s_waitcnt vmcnt(2)
	v_mul_f64 v[8:9], v[18:19], v[8:9]
	s_waitcnt vmcnt(0)
	v_mul_f64 v[8:9], v[20:21], v[8:9]
	v_mul_f64 v[8:9], v[10:11], v[8:9]
	buffer_load_dword v10, off, s[28:31], 0 offset:8 ; 4-byte Folded Reload
	s_waitcnt vmcnt(0)
	v_add_nc_u32_e32 v10, s18, v10
	v_ashrrev_i32_e32 v11, 31, v10
	v_lshlrev_b64 v[10:11], 3, v[10:11]
	v_add_co_u32 v10, vcc_lo, s14, v10
	v_add_co_ci_u32_e64 v11, null, s15, v11, vcc_lo
	global_load_dwordx2 v[10:11], v[10:11], off
	s_clause 0x1
	buffer_load_dword v2, off, s[28:31], 0 offset:248
	buffer_load_dword v3, off, s[28:31], 0 offset:252
	s_waitcnt vmcnt(2)
	v_mul_f64 v[10:11], v[18:19], v[10:11]
	v_mul_f64 v[10:11], v[20:21], v[10:11]
	;; [unrolled: 1-line block ×3, first 2 shown]
	v_fma_f64 v[0:1], v[32:33], v[8:9], v[0:1]
	v_add_f64 v[0:1], v[6:7], -v[0:1]
	v_fma_f64 v[0:1], v[0:1], s[2:3], v[4:5]
	v_fma_f64 v[0:1], v[78:79], v[0:1], v[42:43]
	s_waitcnt vmcnt(0)
	v_add_f64 v[0:1], v[2:3], v[0:1]
	s_clause 0x1
	buffer_load_dword v2, off, s[28:31], 0 offset:216
	buffer_load_dword v3, off, s[28:31], 0 offset:220
	v_mul_f64 v[0:1], s[6:7], v[0:1]
	s_waitcnt vmcnt(1)
	v_add_co_u32 v2, vcc_lo, s22, v2
	s_waitcnt vmcnt(0)
	v_add_co_ci_u32_e64 v3, null, s23, v3, vcc_lo
	global_load_dwordx2 v[4:5], v[2:3], off
	s_clause 0x1
	buffer_load_dword v6, off, s[28:31], 0
	buffer_load_dword v7, off, s[28:31], 0 offset:4
	s_waitcnt vmcnt(0)
	v_mul_f64 v[0:1], v[6:7], v[0:1]
	v_fma_f64 v[0:1], s[4:5], v[4:5], v[0:1]
	global_store_dwordx2 v[2:3], v[0:1], off
.LBB3_2:
	s_endpgm
	.section	.rodata,"a",@progbits
	.p2align	6, 0x0
	.amdhsa_kernel _Z7kernel4iiiiiiiiiiiiddPKdS0_S0_S0_S0_PdS0_S0_S0_S0_S0_S0_S0_
		.amdhsa_group_segment_fixed_size 0
		.amdhsa_private_segment_fixed_size 268
		.amdhsa_kernarg_size 424
		.amdhsa_user_sgpr_count 6
		.amdhsa_user_sgpr_private_segment_buffer 1
		.amdhsa_user_sgpr_dispatch_ptr 0
		.amdhsa_user_sgpr_queue_ptr 0
		.amdhsa_user_sgpr_kernarg_segment_ptr 1
		.amdhsa_user_sgpr_dispatch_id 0
		.amdhsa_user_sgpr_flat_scratch_init 0
		.amdhsa_user_sgpr_private_segment_size 0
		.amdhsa_wavefront_size32 1
		.amdhsa_uses_dynamic_stack 0
		.amdhsa_system_sgpr_private_segment_wavefront_offset 1
		.amdhsa_system_sgpr_workgroup_id_x 1
		.amdhsa_system_sgpr_workgroup_id_y 1
		.amdhsa_system_sgpr_workgroup_id_z 1
		.amdhsa_system_sgpr_workgroup_info 0
		.amdhsa_system_vgpr_workitem_id 2
		.amdhsa_next_free_vgpr 128
		.amdhsa_next_free_sgpr 32
		.amdhsa_reserve_vcc 1
		.amdhsa_reserve_flat_scratch 0
		.amdhsa_float_round_mode_32 0
		.amdhsa_float_round_mode_16_64 0
		.amdhsa_float_denorm_mode_32 3
		.amdhsa_float_denorm_mode_16_64 3
		.amdhsa_dx10_clamp 1
		.amdhsa_ieee_mode 1
		.amdhsa_fp16_overflow 0
		.amdhsa_workgroup_processor_mode 1
		.amdhsa_memory_ordered 1
		.amdhsa_forward_progress 1
		.amdhsa_shared_vgpr_count 0
		.amdhsa_exception_fp_ieee_invalid_op 0
		.amdhsa_exception_fp_denorm_src 0
		.amdhsa_exception_fp_ieee_div_zero 0
		.amdhsa_exception_fp_ieee_overflow 0
		.amdhsa_exception_fp_ieee_underflow 0
		.amdhsa_exception_fp_ieee_inexact 0
		.amdhsa_exception_int_div_zero 0
	.end_amdhsa_kernel
	.text
.Lfunc_end3:
	.size	_Z7kernel4iiiiiiiiiiiiddPKdS0_S0_S0_S0_PdS0_S0_S0_S0_S0_S0_S0_, .Lfunc_end3-_Z7kernel4iiiiiiiiiiiiddPKdS0_S0_S0_S0_PdS0_S0_S0_S0_S0_S0_S0_
                                        ; -- End function
	.set _Z7kernel4iiiiiiiiiiiiddPKdS0_S0_S0_S0_PdS0_S0_S0_S0_S0_S0_S0_.num_vgpr, 128
	.set _Z7kernel4iiiiiiiiiiiiddPKdS0_S0_S0_S0_PdS0_S0_S0_S0_S0_S0_S0_.num_agpr, 0
	.set _Z7kernel4iiiiiiiiiiiiddPKdS0_S0_S0_S0_PdS0_S0_S0_S0_S0_S0_S0_.numbered_sgpr, 32
	.set _Z7kernel4iiiiiiiiiiiiddPKdS0_S0_S0_S0_PdS0_S0_S0_S0_S0_S0_S0_.num_named_barrier, 0
	.set _Z7kernel4iiiiiiiiiiiiddPKdS0_S0_S0_S0_PdS0_S0_S0_S0_S0_S0_S0_.private_seg_size, 268
	.set _Z7kernel4iiiiiiiiiiiiddPKdS0_S0_S0_S0_PdS0_S0_S0_S0_S0_S0_S0_.uses_vcc, 1
	.set _Z7kernel4iiiiiiiiiiiiddPKdS0_S0_S0_S0_PdS0_S0_S0_S0_S0_S0_S0_.uses_flat_scratch, 0
	.set _Z7kernel4iiiiiiiiiiiiddPKdS0_S0_S0_S0_PdS0_S0_S0_S0_S0_S0_S0_.has_dyn_sized_stack, 0
	.set _Z7kernel4iiiiiiiiiiiiddPKdS0_S0_S0_S0_PdS0_S0_S0_S0_S0_S0_S0_.has_recursion, 0
	.set _Z7kernel4iiiiiiiiiiiiddPKdS0_S0_S0_S0_PdS0_S0_S0_S0_S0_S0_S0_.has_indirect_call, 0
	.section	.AMDGPU.csdata,"",@progbits
; Kernel info:
; codeLenInByte = 12220
; TotalNumSgprs: 34
; NumVgprs: 128
; ScratchSize: 268
; MemoryBound: 0
; FloatMode: 240
; IeeeMode: 1
; LDSByteSize: 0 bytes/workgroup (compile time only)
; SGPRBlocks: 0
; VGPRBlocks: 15
; NumSGPRsForWavesPerEU: 34
; NumVGPRsForWavesPerEU: 128
; Occupancy: 8
; WaveLimiterHint : 0
; COMPUTE_PGM_RSRC2:SCRATCH_EN: 1
; COMPUTE_PGM_RSRC2:USER_SGPR: 6
; COMPUTE_PGM_RSRC2:TRAP_HANDLER: 0
; COMPUTE_PGM_RSRC2:TGID_X_EN: 1
; COMPUTE_PGM_RSRC2:TGID_Y_EN: 1
; COMPUTE_PGM_RSRC2:TGID_Z_EN: 1
; COMPUTE_PGM_RSRC2:TIDIG_COMP_CNT: 2
	.text
	.protected	_Z7kernel5iiiiiiiiiiiiiddPKdS0_S0_S0_S0_PdS0_S0_S0_S0_S0_S0_S0_ ; -- Begin function _Z7kernel5iiiiiiiiiiiiiddPKdS0_S0_S0_S0_PdS0_S0_S0_S0_S0_S0_S0_
	.globl	_Z7kernel5iiiiiiiiiiiiiddPKdS0_S0_S0_S0_PdS0_S0_S0_S0_S0_S0_S0_
	.p2align	8
	.type	_Z7kernel5iiiiiiiiiiiiiddPKdS0_S0_S0_S0_PdS0_S0_S0_S0_S0_S0_S0_,@function
_Z7kernel5iiiiiiiiiiiiiddPKdS0_S0_S0_S0_PdS0_S0_S0_S0_S0_S0_S0_: ; @_Z7kernel5iiiiiiiiiiiiiddPKdS0_S0_S0_S0_PdS0_S0_S0_S0_S0_S0_S0_
; %bb.0:
	s_mov_b64 s[46:47], s[2:3]
	s_mov_b64 s[44:45], s[0:1]
	s_clause 0x1
	s_load_dwordx8 s[16:23], s[4:5], 0x0
	s_load_dwordx2 s[0:1], s[4:5], 0xbc
	s_add_u32 s44, s44, s9
	s_addc_u32 s45, s45, 0
	s_waitcnt lgkmcnt(0)
	v_add_nc_u32_e32 v67, s16, v0
	v_add_nc_u32_e32 v75, s18, v1
	s_lshr_b32 s2, s0, 16
	s_and_b32 s0, s0, 0xffff
	s_and_b32 s1, s1, 0xffff
	s_mul_i32 s18, s6, s0
	s_mul_i32 s40, s7, s2
	;; [unrolled: 1-line block ×3, first 2 shown]
	v_add_nc_u32_e32 v9, s18, v67
	v_add_nc_u32_e32 v23, s40, v75
	v_add3_u32 v79, s8, s20, v2
	v_cmp_gt_i32_e32 vcc_lo, s17, v9
	v_cmp_gt_i32_e64 s0, s19, v23
	v_cmp_gt_i32_e64 s1, s21, v79
	s_and_b32 s0, vcc_lo, s0
	s_and_b32 s0, s0, s1
	s_and_saveexec_b32 s1, s0
	s_cbranch_execz .LBB4_13
; %bb.1:
	v_subrev_nc_u32_e32 v1, s22, v9
	s_clause 0x5
	s_load_dwordx8 s[24:31], s[4:5], 0x90
	s_load_dwordx2 s[6:7], s[4:5], 0x80
	s_load_dwordx4 s[0:3], s[4:5], 0x68
	s_load_dwordx8 s[8:15], s[4:5], 0x48
	s_load_dwordx4 s[36:39], s[4:5], 0x20
	s_load_dword s19, s[4:5], 0x30
	s_sub_i32 s21, s23, s22
	v_add_nc_u32_e32 v63, -2, v9
	s_not_b32 s17, s21
	v_ashrrev_i32_e32 v2, 31, v1
	s_add_i32 s21, s21, 1
	v_ashrrev_i32_e32 v12, 31, v9
	v_mul_lo_u32 v25, v23, s21
	v_add_nc_u32_e32 v64, -1, v9
	v_lshlrev_b64 v[1:2], 3, v[1:2]
	v_add_nc_u32_e32 v65, 1, v9
	v_add_nc_u32_e32 v68, 2, v9
	s_waitcnt lgkmcnt(0)
	v_add_co_u32 v5, vcc_lo, s28, v1
	v_add_co_ci_u32_e64 v6, null, s29, v2, vcc_lo
	s_sub_i32 s37, s37, s36
	s_mul_i32 s17, s36, s17
	s_add_i32 s37, s37, 1
	s_clause 0x2
	global_load_dwordx2 v[40:41], v[5:6], off offset:16
	global_load_dwordx4 v[1:4], v[5:6], off
	global_load_dwordx4 v[93:96], v[5:6], off offset:-16
	v_subrev_nc_u32_e32 v5, s36, v23
	s_mul_i32 s20, s37, s21
	s_add_i32 s41, s19, s39
	s_mul_i32 s28, s20, s38
	v_mul_lo_u32 v21, v79, s20
	v_ashrrev_i32_e32 v6, 31, v5
	s_add_i32 s28, s22, s28
	s_lshl_b32 s42, s38, 1
	s_sub_i32 s29, s17, s28
	s_sub_i32 s41, s41, s42
	v_lshlrev_b64 v[5:6], 3, v[5:6]
	v_add_nc_u32_e32 v22, s29, v9
	v_add3_u32 v30, v21, v25, s29
	s_add_i32 s41, s41, -6
	s_mul_i32 s42, s38, 3
	s_mul_i32 s41, s41, s37
	v_add_co_u32 v10, vcc_lo, s30, v5
	v_add_co_ci_u32_e64 v11, null, s31, v6, vcc_lo
	v_add_nc_u32_e32 v29, v25, v22
	v_add_nc_u32_e32 v67, s17, v67
	s_clause 0x2
	global_load_dwordx2 v[59:60], v[10:11], off offset:16
	global_load_dwordx4 v[5:8], v[10:11], off
	global_load_dwordx4 v[69:72], v[10:11], off offset:-16
	s_add_i32 s30, s19, -8
	v_add_nc_u32_e32 v10, v29, v21
	v_ashrrev_i32_e32 v11, 31, v10
	v_lshlrev_b64 v[13:14], 3, v[10:11]
	v_add_co_u32 v10, vcc_lo, s0, v13
	v_add_co_ci_u32_e64 v11, null, s1, v14, vcc_lo
	s_sub_i32 s0, s39, s38
	s_add_i32 s0, s0, 1
	global_load_dwordx2 v[10:11], v[10:11], off
	s_mul_i32 s28, s0, s20
	s_waitcnt vmcnt(0)
	buffer_store_dword v10, off, s[44:47], 0 offset:232 ; 4-byte Folded Spill
	buffer_store_dword v11, off, s[44:47], 0 offset:236 ; 4-byte Folded Spill
	v_div_scale_f64 v[10:11], null, v[5:6], v[5:6], 1.0
	s_sub_i32 s34, s29, s28
	s_ashr_i32 s29, s28, 31
	s_ashr_i32 s0, s34, 31
	v_add_nc_u32_e32 v24, s34, v9
	s_lshl_b32 s31, s28, 1
	s_mul_i32 s35, s28, 3
	s_ashr_i32 s33, s31, 31
	s_ashr_i32 s36, s35, 31
	v_add_nc_u32_e32 v58, v25, v24
	v_add_nc_u32_e32 v57, v58, v21
	v_ashrrev_i32_e32 v61, 31, v57
	v_rcp_f64_e32 v[15:16], v[10:11]
	v_fma_f64 v[17:18], -v[10:11], v[15:16], 1.0
	v_fma_f64 v[15:16], v[15:16], v[17:18], v[15:16]
	v_fma_f64 v[17:18], -v[10:11], v[15:16], 1.0
	v_fma_f64 v[15:16], v[15:16], v[17:18], v[15:16]
	v_div_scale_f64 v[17:18], vcc_lo, 1.0, v[5:6], 1.0
	v_mul_f64 v[19:20], v[17:18], v[15:16]
	v_fma_f64 v[10:11], -v[10:11], v[19:20], v[17:18]
	v_div_fmas_f64 v[10:11], v[10:11], v[15:16], v[19:20]
	v_div_fixup_f64 v[51:52], v[10:11], v[5:6], 1.0
	v_div_scale_f64 v[10:11], null, v[1:2], v[1:2], 1.0
	v_rcp_f64_e32 v[15:16], v[10:11]
	v_fma_f64 v[17:18], -v[10:11], v[15:16], 1.0
	v_fma_f64 v[15:16], v[15:16], v[17:18], v[15:16]
	v_fma_f64 v[17:18], -v[10:11], v[15:16], 1.0
	v_fma_f64 v[15:16], v[15:16], v[17:18], v[15:16]
	v_div_scale_f64 v[17:18], vcc_lo, 1.0, v[1:2], 1.0
	v_mul_f64 v[19:20], v[17:18], v[15:16]
	v_fma_f64 v[10:11], -v[10:11], v[19:20], v[17:18]
	v_div_fmas_f64 v[10:11], v[10:11], v[15:16], v[19:20]
	v_div_fixup_f64 v[53:54], v[10:11], v[1:2], 1.0
	v_add_nc_u32_e32 v10, v30, v63
	v_ashrrev_i32_e32 v11, 31, v10
	v_lshlrev_b64 v[10:11], 3, v[10:11]
	v_add_co_u32 v15, vcc_lo, s10, v10
	v_add_co_ci_u32_e64 v16, null, s11, v11, vcc_lo
	v_add_co_u32 v10, vcc_lo, s12, v10
	v_add_co_ci_u32_e64 v11, null, s13, v11, vcc_lo
	global_load_dwordx2 v[55:56], v[15:16], off
	v_add_co_u32 v15, vcc_lo, v9, s34
	global_load_dwordx2 v[10:11], v[10:11], off
	v_add_co_ci_u32_e64 v12, null, s0, v12, vcc_lo
	v_add_co_u32 v15, vcc_lo, v15, v25
	v_add_nc_u32_e32 v9, v30, v68
	s_mov_b32 s0, 0x55555555
	s_mov_b32 s1, 0x3fc55555
	v_mul_f64 v[99:100], v[53:54], v[51:52]
	s_waitcnt vmcnt(0)
	buffer_store_dword v10, off, s[44:47], 0 offset:320 ; 4-byte Folded Spill
	buffer_store_dword v11, off, s[44:47], 0 offset:324 ; 4-byte Folded Spill
	v_fma_f64 v[16:17], v[55:56], 2.0, v[10:11]
	v_ashrrev_i32_e32 v11, 31, v25
	v_ashrrev_i32_e32 v10, 31, v21
	v_add_nc_u32_e32 v25, s28, v57
	v_add_co_ci_u32_e64 v11, null, v12, v11, vcc_lo
	v_add_co_u32 v12, vcc_lo, v15, v21
	v_ashrrev_i32_e32 v26, 31, v25
	v_add_co_ci_u32_e64 v11, null, v11, v10, vcc_lo
	v_add_co_u32 v10, vcc_lo, v12, s28
	v_lshlrev_b64 v[32:33], 3, v[25:26]
	v_add_co_ci_u32_e64 v11, null, s29, v11, vcc_lo
	v_lshlrev_b64 v[10:11], 3, v[10:11]
	v_add_co_u32 v10, vcc_lo, s14, v10
	v_add_co_ci_u32_e64 v11, null, s15, v11, vcc_lo
	global_load_dwordx4 v[83:86], v[10:11], off offset:-16
	buffer_store_dword v16, off, s[44:47], 0 offset:480 ; 4-byte Folded Spill
	buffer_store_dword v17, off, s[44:47], 0 offset:484 ; 4-byte Folded Spill
	s_waitcnt vmcnt(0)
	v_mul_f64 v[10:11], v[16:17], v[83:84]
	v_mul_f64 v[15:16], v[83:84], v[10:11]
	v_add_nc_u32_e32 v10, v30, v64
	v_ashrrev_i32_e32 v11, 31, v10
	v_lshlrev_b64 v[10:11], 3, v[10:11]
	v_add_co_u32 v17, vcc_lo, s10, v10
	v_add_co_ci_u32_e64 v18, null, s11, v11, vcc_lo
	v_add_co_u32 v10, vcc_lo, s12, v10
	v_add_co_ci_u32_e64 v11, null, s13, v11, vcc_lo
	global_load_dwordx2 v[105:106], v[17:18], off
	global_load_dwordx2 v[10:11], v[10:11], off
	s_waitcnt vmcnt(0)
	buffer_store_dword v10, off, s[44:47], 0 offset:336 ; 4-byte Folded Spill
	buffer_store_dword v11, off, s[44:47], 0 offset:340 ; 4-byte Folded Spill
	v_fma_f64 v[10:11], v[105:106], 2.0, v[10:11]
	buffer_store_dword v10, off, s[44:47], 0 offset:492 ; 4-byte Folded Spill
	buffer_store_dword v11, off, s[44:47], 0 offset:496 ; 4-byte Folded Spill
	v_mul_f64 v[10:11], v[10:11], v[85:86]
	v_mul_f64 v[17:18], v[85:86], v[10:11]
	v_add_co_u32 v10, vcc_lo, s10, v13
	v_add_co_ci_u32_e64 v11, null, s11, v14, vcc_lo
	v_add_co_u32 v13, vcc_lo, s12, v13
	v_add_co_ci_u32_e64 v14, null, s13, v14, vcc_lo
	;; [unrolled: 2-line block ×3, first 2 shown]
	global_load_dwordx2 v[11:12], v[10:11], off
	global_load_dwordx2 v[13:14], v[13:14], off
	s_clause 0x1
	global_load_dwordx2 v[97:98], v[25:26], off offset:16
	global_load_dwordx4 v[89:92], v[25:26], off
	v_add_nc_u32_e32 v25, v30, v65
	v_ashrrev_i32_e32 v10, 31, v9
	v_ashrrev_i32_e32 v26, 31, v25
	v_lshlrev_b64 v[9:10], 3, v[9:10]
	v_mul_f64 v[19:20], v[95:96], v[17:18]
	v_lshlrev_b64 v[25:26], 3, v[25:26]
	v_add_co_u32 v27, vcc_lo, s10, v25
	v_add_co_ci_u32_e64 v28, null, s11, v26, vcc_lo
	v_add_co_u32 v25, vcc_lo, s12, v25
	v_add_co_ci_u32_e64 v26, null, s13, v26, vcc_lo
	global_load_dwordx2 v[38:39], v[27:28], off
	v_add_co_u32 v30, vcc_lo, s10, v9
	global_load_dwordx2 v[25:26], v[25:26], off
	v_add_co_ci_u32_e64 v31, null, s11, v10, vcc_lo
	v_add_co_u32 v9, vcc_lo, s12, v9
	v_add_co_ci_u32_e64 v10, null, s13, v10, vcc_lo
	s_waitcnt vmcnt(0)
	buffer_store_dword v25, off, s[44:47], 0 offset:376 ; 4-byte Folded Spill
	buffer_store_dword v26, off, s[44:47], 0 offset:380 ; 4-byte Folded Spill
	v_fma_f64 v[13:14], v[11:12], 2.0, v[13:14]
	v_mul_f64 v[11:12], v[11:12], v[89:90]
	v_mul_f64 v[13:14], v[13:14], v[89:90]
	;; [unrolled: 1-line block ×5, first 2 shown]
	v_fma_f64 v[17:18], v[95:96], v[17:18], v[13:14]
	v_fma_f64 v[25:26], v[38:39], 2.0, v[25:26]
	buffer_store_dword v25, off, s[44:47], 0 offset:384 ; 4-byte Folded Spill
	buffer_store_dword v26, off, s[44:47], 0 offset:388 ; 4-byte Folded Spill
	global_load_dwordx2 v[9:10], v[9:10], off
	global_load_dwordx2 v[107:108], v[30:31], off
	v_fma_f64 v[30:31], v[93:94], v[15:16], v[13:14]
	s_waitcnt vmcnt(1)
	buffer_store_dword v9, off, s[44:47], 0 offset:432 ; 4-byte Folded Spill
	buffer_store_dword v10, off, s[44:47], 0 offset:436 ; 4-byte Folded Spill
	v_mul_f64 v[25:26], v[25:26], v[91:92]
	v_fma_f64 v[30:31], 0xbfe80000, v[30:31], v[19:20]
	v_mul_f64 v[25:26], v[91:92], v[25:26]
	v_mul_f64 v[27:28], v[3:4], v[25:26]
	v_fma_f64 v[15:16], v[93:94], v[15:16], v[27:28]
	v_fma_f64 v[17:18], 0x40080000, v[17:18], v[15:16]
	s_waitcnt vmcnt(0)
	v_fma_f64 v[9:10], v[107:108], 2.0, v[9:10]
	buffer_store_dword v9, off, s[44:47], 0 offset:456 ; 4-byte Folded Spill
	buffer_store_dword v10, off, s[44:47], 0 offset:460 ; 4-byte Folded Spill
	v_mul_f64 v[9:10], v[9:10], v[97:98]
	v_mul_f64 v[9:10], v[97:98], v[9:10]
	v_fma_f64 v[15:16], v[40:41], v[9:10], v[19:20]
	v_fma_f64 v[19:20], v[3:4], v[25:26], v[13:14]
	v_fma_f64 v[9:10], v[40:41], v[9:10], v[13:14]
	v_add_co_u32 v13, vcc_lo, s8, v32
	buffer_store_dword v32, off, s[44:47], 0 offset:240 ; 4-byte Folded Spill
	buffer_store_dword v33, off, s[44:47], 0 offset:244 ; 4-byte Folded Spill
	v_fma_f64 v[19:20], 0x40080000, v[19:20], v[15:16]
	v_fma_f64 v[9:10], 0xbfe80000, v[9:10], v[27:28]
	v_add_co_ci_u32_e64 v14, null, s9, v33, vcc_lo
	s_clause 0x2
	global_load_dwordx2 v[32:33], v[13:14], off offset:16
	global_load_dwordx4 v[25:28], v[13:14], off
	global_load_dwordx4 v[13:16], v[13:14], off offset:-16
	s_waitcnt vmcnt(0)
	v_add_f64 v[15:16], v[15:16], -v[25:26]
	v_add_f64 v[13:14], v[13:14], -v[25:26]
	v_mul_f64 v[15:16], v[17:18], v[15:16]
	v_fma_f64 v[13:14], v[30:31], v[13:14], v[15:16]
	v_add_f64 v[15:16], v[27:28], -v[25:26]
	v_fma_f64 v[13:14], v[19:20], v[15:16], v[13:14]
	v_add_f64 v[15:16], v[32:33], -v[25:26]
	v_mul_f64 v[19:20], v[5:6], v[11:12]
	v_fma_f64 v[9:10], v[9:10], v[15:16], v[13:14]
	v_add_nc_u32_e32 v13, -2, v23
	v_mul_lo_u32 v17, v13, s21
	v_add_nc_u32_e32 v76, v21, v17
	v_add3_u32 v50, v17, v24, v21
	v_add_nc_u32_e32 v23, s21, v17
	v_add_nc_u32_e32 v13, v76, v22
	;; [unrolled: 1-line block ×3, first 2 shown]
	v_add3_u32 v113, v23, v24, v21
	v_lshl_add_u32 v23, s21, 1, v23
	v_ashrrev_i32_e32 v14, 31, v13
	v_mul_f64 v[9:10], v[9:10], s[0:1]
	v_add_nc_u32_e32 v66, v21, v23
	v_lshlrev_b64 v[42:43], 3, v[13:14]
	v_add_nc_u32_e32 v32, s21, v23
	v_add3_u32 v115, v23, v24, v21
	v_add_nc_u32_e32 v27, v66, v22
	v_add_co_u32 v13, vcc_lo, s10, v42
	v_add_co_ci_u32_e64 v14, null, s11, v43, vcc_lo
	v_ashrrev_i32_e32 v28, 31, v27
	v_add_nc_u32_e32 v80, v21, v32
	v_add3_u32 v114, v32, v24, v21
	global_load_dwordx2 v[87:88], v[13:14], off
	v_add_nc_u32_e32 v13, s28, v50
	v_lshlrev_b64 v[46:47], 3, v[27:28]
	v_add_nc_u32_e32 v21, s28, v114
	v_fma_f64 v[9:10], v[51:52], v[9:10], 0
	v_ashrrev_i32_e32 v14, 31, v13
	v_lshlrev_b64 v[13:14], 3, v[13:14]
	v_add_co_u32 v15, vcc_lo, s14, v13
	v_add_co_ci_u32_e64 v16, null, s15, v14, vcc_lo
	global_load_dwordx2 v[73:74], v[15:16], off
	s_waitcnt vmcnt(0)
	v_mul_f64 v[15:16], v[87:88], v[73:74]
	v_mul_f64 v[34:35], v[73:74], v[15:16]
	v_add_nc_u32_e32 v15, v62, v22
	v_add_nc_u32_e32 v22, v80, v22
	v_ashrrev_i32_e32 v16, 31, v15
	v_ashrrev_i32_e32 v23, 31, v22
	v_lshlrev_b64 v[44:45], 3, v[15:16]
	v_lshlrev_b64 v[48:49], 3, v[22:23]
	v_add_co_u32 v15, vcc_lo, s10, v44
	v_add_co_ci_u32_e64 v16, null, s11, v45, vcc_lo
	global_load_dwordx2 v[81:82], v[15:16], off
	v_add_nc_u32_e32 v15, s28, v113
	v_ashrrev_i32_e32 v16, 31, v15
	v_lshlrev_b64 v[15:16], 3, v[15:16]
	v_add_co_u32 v17, vcc_lo, s14, v15
	v_add_co_ci_u32_e64 v18, null, s15, v16, vcc_lo
	v_add_co_u32 v27, vcc_lo, s10, v46
	v_add_co_ci_u32_e64 v28, null, s11, v47, vcc_lo
	global_load_dwordx2 v[77:78], v[17:18], off
	global_load_dwordx2 v[101:102], v[27:28], off
	v_add_nc_u32_e32 v27, s28, v115
	v_ashrrev_i32_e32 v28, 31, v27
	v_lshlrev_b64 v[27:28], 3, v[27:28]
	v_add_co_u32 v30, vcc_lo, s14, v27
	v_add_co_ci_u32_e64 v31, null, s15, v28, vcc_lo
	v_add_co_u32 v22, vcc_lo, s10, v48
	v_add_co_ci_u32_e64 v23, null, s11, v49, vcc_lo
	global_load_dwordx2 v[89:90], v[30:31], off
	global_load_dwordx2 v[111:112], v[22:23], off
	v_ashrrev_i32_e32 v22, 31, v21
	v_lshlrev_b64 v[21:22], 3, v[21:22]
	v_add_co_u32 v23, vcc_lo, s14, v21
	v_add_co_ci_u32_e64 v24, null, s15, v22, vcc_lo
	v_add_co_u32 v13, vcc_lo, s8, v13
	v_add_co_ci_u32_e64 v14, null, s9, v14, vcc_lo
	global_load_dwordx2 v[103:104], v[23:24], off
	v_add_co_u32 v15, vcc_lo, s8, v15
	v_add_co_ci_u32_e64 v16, null, s9, v16, vcc_lo
	s_waitcnt vmcnt(4)
	v_mul_f64 v[17:18], v[81:82], v[77:78]
	v_mul_f64 v[109:110], v[77:78], v[17:18]
	s_waitcnt vmcnt(2)
	v_mul_f64 v[30:31], v[101:102], v[89:90]
	v_mul_f64 v[17:18], v[71:72], v[109:110]
	;; [unrolled: 1-line block ×3, first 2 shown]
	s_waitcnt vmcnt(0)
	v_mul_f64 v[23:24], v[111:112], v[103:104]
	v_mul_f64 v[30:31], v[7:8], v[116:117]
	;; [unrolled: 1-line block ×3, first 2 shown]
	v_fma_f64 v[23:24], v[69:70], v[34:35], v[19:20]
	buffer_store_dword v34, off, s[44:47], 0 offset:532 ; 4-byte Folded Spill
	buffer_store_dword v35, off, s[44:47], 0 offset:536 ; 4-byte Folded Spill
	;; [unrolled: 1-line block ×6, first 2 shown]
	v_fma_f64 v[32:33], 0xbfe80000, v[23:24], v[17:18]
	v_fma_f64 v[17:18], v[59:60], v[118:119], v[17:18]
	buffer_store_dword v118, off, s[44:47], 0 offset:596 ; 4-byte Folded Spill
	buffer_store_dword v119, off, s[44:47], 0 offset:600 ; 4-byte Folded Spill
	s_clause 0x1
	global_load_dwordx2 v[13:14], v[13:14], off
	global_load_dwordx2 v[15:16], v[15:16], off
	v_fma_f64 v[23:24], v[69:70], v[34:35], v[30:31]
	v_fma_f64 v[34:35], v[71:72], v[109:110], v[19:20]
	v_fma_f64 v[34:35], 0x40080000, v[34:35], v[23:24]
	v_fma_f64 v[23:24], v[7:8], v[116:117], v[19:20]
	s_waitcnt vmcnt(1)
	v_add_f64 v[13:14], v[13:14], -v[25:26]
	s_waitcnt vmcnt(0)
	v_add_f64 v[15:16], v[15:16], -v[25:26]
	v_fma_f64 v[19:20], v[59:60], v[118:119], v[19:20]
	v_fma_f64 v[17:18], 0x40080000, v[23:24], v[17:18]
	v_mul_f64 v[15:16], v[34:35], v[15:16]
	v_fma_f64 v[30:31], 0xbfe80000, v[19:20], v[30:31]
	v_fma_f64 v[13:14], v[32:33], v[13:14], v[15:16]
	v_add_co_u32 v15, vcc_lo, s8, v27
	v_add_co_ci_u32_e64 v16, null, s9, v28, vcc_lo
	global_load_dwordx2 v[15:16], v[15:16], off
	s_waitcnt vmcnt(0)
	v_add_f64 v[15:16], v[15:16], -v[25:26]
	v_fma_f64 v[13:14], v[17:18], v[15:16], v[13:14]
	v_add_co_u32 v15, vcc_lo, s8, v21
	v_add_co_ci_u32_e64 v16, null, s9, v22, vcc_lo
	global_load_dwordx2 v[15:16], v[15:16], off
	buffer_store_dword v55, off, s[44:47], 0 offset:392 ; 4-byte Folded Spill
	buffer_store_dword v56, off, s[44:47], 0 offset:396 ; 4-byte Folded Spill
	;; [unrolled: 1-line block ×4, first 2 shown]
	s_waitcnt vmcnt(0)
	v_add_f64 v[15:16], v[15:16], -v[25:26]
	v_fma_f64 v[13:14], v[30:31], v[15:16], v[13:14]
	v_mul_f64 v[15:16], v[1:2], v[11:12]
	v_mov_b32_e32 v11, v91
	v_mov_b32_e32 v12, v92
	v_mul_f64 v[13:14], v[13:14], s[0:1]
	v_fma_f64 v[109:110], v[53:54], v[13:14], v[9:10]
	v_mul_f64 v[9:10], v[55:56], v[83:84]
	v_add_nc_u32_e32 v55, s31, v57
	v_ashrrev_i32_e32 v56, 31, v55
	v_mul_f64 v[25:26], v[83:84], v[9:10]
	v_mul_f64 v[9:10], v[105:106], v[85:86]
	buffer_store_dword v83, off, s[44:47], 0 offset:288 ; 4-byte Folded Spill
	buffer_store_dword v84, off, s[44:47], 0 offset:292 ; 4-byte Folded Spill
	;; [unrolled: 1-line block ×6, first 2 shown]
	v_mul_f64 v[21:22], v[85:86], v[9:10]
	v_mul_f64 v[9:10], v[38:39], v[91:92]
	buffer_store_dword v9, off, s[44:47], 0 offset:352 ; 4-byte Folded Spill
	buffer_store_dword v10, off, s[44:47], 0 offset:356 ; 4-byte Folded Spill
	;; [unrolled: 1-line block ×6, first 2 shown]
	v_mul_f64 v[13:14], v[95:96], v[21:22]
	v_mul_f64 v[23:24], v[91:92], v[9:10]
	;; [unrolled: 1-line block ×3, first 2 shown]
	buffer_store_dword v97, off, s[44:47], 0 offset:416 ; 4-byte Folded Spill
	buffer_store_dword v98, off, s[44:47], 0 offset:420 ; 4-byte Folded Spill
	v_mul_f64 v[19:20], v[3:4], v[23:24]
	v_mul_f64 v[27:28], v[97:98], v[9:10]
	v_fma_f64 v[9:10], v[93:94], v[25:26], v[15:16]
	buffer_store_dword v25, off, s[44:47], 0 offset:540 ; 4-byte Folded Spill
	buffer_store_dword v26, off, s[44:47], 0 offset:544 ; 4-byte Folded Spill
	v_fma_f64 v[9:10], 0xbfe80000, v[9:10], v[13:14]
	v_fma_f64 v[13:14], v[40:41], v[27:28], v[13:14]
	;; [unrolled: 1-line block ×3, first 2 shown]
	buffer_store_dword v93, off, s[44:47], 0 offset:400 ; 4-byte Folded Spill
	buffer_store_dword v94, off, s[44:47], 0 offset:404 ; 4-byte Folded Spill
	buffer_store_dword v95, off, s[44:47], 0 offset:408 ; 4-byte Folded Spill
	buffer_store_dword v96, off, s[44:47], 0 offset:412 ; 4-byte Folded Spill
	buffer_store_dword v21, off, s[44:47], 0 offset:516 ; 4-byte Folded Spill
	buffer_store_dword v22, off, s[44:47], 0 offset:520 ; 4-byte Folded Spill
	buffer_store_dword v23, off, s[44:47], 0 offset:524 ; 4-byte Folded Spill
	buffer_store_dword v24, off, s[44:47], 0 offset:528 ; 4-byte Folded Spill
	buffer_store_dword v40, off, s[44:47], 0 offset:272 ; 4-byte Folded Spill
	buffer_store_dword v41, off, s[44:47], 0 offset:276 ; 4-byte Folded Spill
	buffer_store_dword v27, off, s[44:47], 0 offset:548 ; 4-byte Folded Spill
	buffer_store_dword v28, off, s[44:47], 0 offset:552 ; 4-byte Folded Spill
	v_fma_f64 v[21:22], v[95:96], v[21:22], v[15:16]
	v_lshlrev_b64 v[94:95], 3, v[55:56]
	v_fma_f64 v[11:12], 0x40080000, v[21:22], v[11:12]
	v_fma_f64 v[21:22], v[3:4], v[23:24], v[15:16]
	;; [unrolled: 1-line block ×5, first 2 shown]
	v_add_co_u32 v13, vcc_lo, v57, s31
	v_add_co_ci_u32_e64 v14, null, s33, v61, vcc_lo
	v_lshlrev_b64 v[13:14], 3, v[13:14]
	v_add_co_u32 v13, vcc_lo, s8, v13
	v_add_co_ci_u32_e64 v14, null, s9, v14, vcc_lo
	v_add_co_u32 v21, vcc_lo, s8, v94
	v_add_co_ci_u32_e64 v22, null, s9, v95, vcc_lo
	s_clause 0x2
	global_load_dwordx2 v[19:20], v[13:14], off offset:-16
	global_load_dwordx4 v[13:16], v[21:22], off offset:8
	global_load_dwordx4 v[25:28], v[21:22], off offset:-8
	s_waitcnt vmcnt(0)
	v_add_f64 v[21:22], v[25:26], -v[27:28]
	v_add_f64 v[19:20], v[19:20], -v[27:28]
	;; [unrolled: 1-line block ×4, first 2 shown]
	v_mul_f64 v[21:22], v[11:12], v[21:22]
	v_fma_f64 v[19:20], v[9:10], v[19:20], v[21:22]
	v_mul_f64 v[21:22], v[5:6], v[36:37]
	v_fma_f64 v[13:14], v[38:39], v[13:14], v[19:20]
	v_fma_f64 v[13:14], v[40:41], v[15:16], v[13:14]
	v_mul_f64 v[13:14], v[13:14], s[0:1]
	v_fma_f64 v[25:26], v[51:52], v[13:14], 0
	v_add_co_u32 v13, vcc_lo, s12, v42
	v_add_co_ci_u32_e64 v14, null, s13, v43, vcc_lo
	v_add_co_u32 v15, vcc_lo, s12, v44
	v_add_co_ci_u32_e64 v16, null, s13, v45, vcc_lo
	global_load_dwordx2 v[13:14], v[13:14], off
	v_add_co_u32 v23, vcc_lo, s12, v46
	v_add_co_ci_u32_e64 v24, null, s13, v47, vcc_lo
	v_add_co_u32 v42, vcc_lo, s12, v48
	v_add_co_ci_u32_e64 v43, null, s13, v49, vcc_lo
	v_add_nc_u32_e32 v46, s31, v50
	buffer_store_dword v87, off, s[44:47], 0 offset:328 ; 4-byte Folded Spill
	buffer_store_dword v88, off, s[44:47], 0 offset:332 ; 4-byte Folded Spill
	s_waitcnt vmcnt(0)
	buffer_store_dword v13, off, s[44:47], 0 offset:40 ; 4-byte Folded Spill
	buffer_store_dword v14, off, s[44:47], 0 offset:44 ; 4-byte Folded Spill
	v_ashrrev_i32_e32 v47, 31, v46
	v_fma_f64 v[13:14], v[87:88], 2.0, v[13:14]
	buffer_store_dword v13, off, s[44:47], 0 offset:580 ; 4-byte Folded Spill
	buffer_store_dword v14, off, s[44:47], 0 offset:584 ; 4-byte Folded Spill
	v_add3_u32 v87, s40, s41, v75
	s_lshl_b32 s41, s39, 1
	s_mul_i32 s39, s39, 3
	s_add_i32 s41, s19, s41
	s_add_i32 s39, s19, s39
	s_sub_i32 s41, s41, s42
	s_add_i32 s41, s41, -5
	s_mul_i32 s41, s41, s37
	v_add3_u32 v88, s40, s41, v75
	s_lshl_b32 s41, s38, 2
	s_sub_i32 s39, s39, s41
	s_add_i32 s39, s39, -4
	s_mul_i32 s39, s39, s37
	v_mul_f64 v[13:14], v[73:74], v[13:14]
	buffer_store_dword v73, off, s[44:47], 0 ; 4-byte Folded Spill
	buffer_store_dword v74, off, s[44:47], 0 offset:4 ; 4-byte Folded Spill
	global_load_dwordx2 v[15:16], v[15:16], off
	buffer_store_dword v81, off, s[44:47], 0 offset:280 ; 4-byte Folded Spill
	buffer_store_dword v82, off, s[44:47], 0 offset:284 ; 4-byte Folded Spill
	s_waitcnt vmcnt(0)
	buffer_store_dword v15, off, s[44:47], 0 offset:32 ; 4-byte Folded Spill
	buffer_store_dword v16, off, s[44:47], 0 offset:36 ; 4-byte Folded Spill
	v_mul_f64 v[13:14], v[73:74], v[13:14]
	v_fma_f64 v[44:45], v[69:70], v[13:14], v[21:22]
	v_fma_f64 v[15:16], v[81:82], 2.0, v[15:16]
	buffer_store_dword v15, off, s[44:47], 0 offset:572 ; 4-byte Folded Spill
	buffer_store_dword v16, off, s[44:47], 0 offset:576 ; 4-byte Folded Spill
	v_mul_f64 v[15:16], v[77:78], v[15:16]
	buffer_store_dword v77, off, s[44:47], 0 offset:8 ; 4-byte Folded Spill
	buffer_store_dword v78, off, s[44:47], 0 offset:12 ; 4-byte Folded Spill
	global_load_dwordx2 v[23:24], v[23:24], off
	buffer_store_dword v101, off, s[44:47], 0 offset:424 ; 4-byte Folded Spill
	buffer_store_dword v102, off, s[44:47], 0 offset:428 ; 4-byte Folded Spill
	s_waitcnt vmcnt(0)
	buffer_store_dword v23, off, s[44:47], 0 offset:48 ; 4-byte Folded Spill
	buffer_store_dword v24, off, s[44:47], 0 offset:52 ; 4-byte Folded Spill
	v_mul_f64 v[15:16], v[77:78], v[15:16]
	v_mul_f64 v[19:20], v[71:72], v[15:16]
	v_fma_f64 v[48:49], 0xbfe80000, v[44:45], v[19:20]
	v_add_nc_u32_e32 v44, s31, v113
	v_ashrrev_i32_e32 v45, 31, v44
	v_fma_f64 v[23:24], v[101:102], 2.0, v[23:24]
	buffer_store_dword v23, off, s[44:47], 0 offset:508 ; 4-byte Folded Spill
	buffer_store_dword v24, off, s[44:47], 0 offset:512 ; 4-byte Folded Spill
	v_mul_f64 v[23:24], v[89:90], v[23:24]
	buffer_store_dword v89, off, s[44:47], 0 offset:16 ; 4-byte Folded Spill
	buffer_store_dword v90, off, s[44:47], 0 offset:20 ; 4-byte Folded Spill
	global_load_dwordx2 v[42:43], v[42:43], off
	buffer_store_dword v111, off, s[44:47], 0 offset:472 ; 4-byte Folded Spill
	buffer_store_dword v112, off, s[44:47], 0 offset:476 ; 4-byte Folded Spill
	s_waitcnt vmcnt(0)
	buffer_store_dword v42, off, s[44:47], 0 offset:56 ; 4-byte Folded Spill
	buffer_store_dword v43, off, s[44:47], 0 offset:60 ; 4-byte Folded Spill
	v_mul_f64 v[23:24], v[89:90], v[23:24]
	v_mul_f64 v[36:37], v[7:8], v[23:24]
	v_fma_f64 v[13:14], v[69:70], v[13:14], v[36:37]
	v_fma_f64 v[42:43], v[111:112], 2.0, v[42:43]
	buffer_store_dword v42, off, s[44:47], 0 offset:556 ; 4-byte Folded Spill
	buffer_store_dword v43, off, s[44:47], 0 offset:560 ; 4-byte Folded Spill
	v_mul_f64 v[42:43], v[103:104], v[42:43]
	buffer_store_dword v103, off, s[44:47], 0 offset:24 ; 4-byte Folded Spill
	buffer_store_dword v104, off, s[44:47], 0 offset:28 ; 4-byte Folded Spill
	;; [unrolled: 1-line block ×6, first 2 shown]
	v_mad_u64_u32 v[69:70], null, v87, s21, v[67:68]
	v_fma_f64 v[15:16], v[71:72], v[15:16], v[21:22]
	v_mul_f64 v[42:43], v[103:104], v[42:43]
	v_fma_f64 v[13:14], 0x40080000, v[15:16], v[13:14]
	v_fma_f64 v[15:16], v[59:60], v[42:43], v[19:20]
	buffer_store_dword v59, off, s[44:47], 0 offset:248 ; 4-byte Folded Spill
	buffer_store_dword v60, off, s[44:47], 0 offset:252 ; 4-byte Folded Spill
	v_fma_f64 v[19:20], v[7:8], v[23:24], v[21:22]
	buffer_store_dword v50, off, s[44:47], 0 offset:756 ; 4-byte Folded Spill
	v_fma_f64 v[15:16], 0x40080000, v[19:20], v[15:16]
	v_fma_f64 v[19:20], v[59:60], v[42:43], v[21:22]
	v_lshlrev_b64 v[22:23], 3, v[46:47]
	v_add_nc_u32_e32 v42, s31, v115
	v_add_co_u32 v21, vcc_lo, s8, v22
	buffer_store_dword v22, off, s[44:47], 0 offset:628 ; 4-byte Folded Spill
	buffer_store_dword v23, off, s[44:47], 0 offset:632 ; 4-byte Folded Spill
	;; [unrolled: 1-line block ×3, first 2 shown]
	v_ashrrev_i32_e32 v43, 31, v42
	v_fma_f64 v[19:20], 0xbfe80000, v[19:20], v[36:37]
	v_lshlrev_b64 v[36:37], 3, v[44:45]
	v_add_co_ci_u32_e64 v22, null, s9, v23, vcc_lo
	v_add_co_u32 v23, vcc_lo, s8, v36
	global_load_dwordx2 v[21:22], v[21:22], off
	buffer_store_dword v36, off, s[44:47], 0 offset:636 ; 4-byte Folded Spill
	buffer_store_dword v37, off, s[44:47], 0 offset:640 ; 4-byte Folded Spill
	;; [unrolled: 1-line block ×3, first 2 shown]
	v_add_nc_u32_e32 v36, s31, v114
	v_add_co_ci_u32_e64 v24, null, s9, v37, vcc_lo
	s_waitcnt vmcnt(0)
	v_add_f64 v[21:22], v[21:22], -v[27:28]
	v_ashrrev_i32_e32 v37, 31, v36
	global_load_dwordx2 v[23:24], v[23:24], off
	s_waitcnt vmcnt(0)
	v_add_f64 v[23:24], v[23:24], -v[27:28]
	v_mul_f64 v[13:14], v[23:24], v[13:14]
	v_fma_f64 v[13:14], v[21:22], v[48:49], v[13:14]
	v_lshlrev_b64 v[22:23], 3, v[42:43]
	v_add_co_u32 v21, vcc_lo, s8, v22
	buffer_store_dword v22, off, s[44:47], 0 offset:604 ; 4-byte Folded Spill
	buffer_store_dword v23, off, s[44:47], 0 offset:608 ; 4-byte Folded Spill
	;; [unrolled: 1-line block ×3, first 2 shown]
	v_add_co_ci_u32_e64 v22, null, s9, v23, vcc_lo
	global_load_dwordx2 v[21:22], v[21:22], off
	s_waitcnt vmcnt(0)
	v_add_f64 v[21:22], v[21:22], -v[27:28]
	v_fma_f64 v[13:14], v[21:22], v[15:16], v[13:14]
	v_lshlrev_b64 v[21:22], 3, v[36:37]
	v_add_co_u32 v15, vcc_lo, s8, v21
	buffer_store_dword v21, off, s[44:47], 0 offset:620 ; 4-byte Folded Spill
	buffer_store_dword v22, off, s[44:47], 0 offset:624 ; 4-byte Folded Spill
	v_add_co_ci_u32_e64 v16, null, s9, v22, vcc_lo
	global_load_dwordx2 v[15:16], v[15:16], off
	s_waitcnt vmcnt(0)
	v_add_f64 v[15:16], v[15:16], -v[27:28]
	v_fma_f64 v[13:14], v[15:16], v[19:20], v[13:14]
	v_mul_f64 v[13:14], v[13:14], s[0:1]
	v_fma_f64 v[81:82], v[53:54], v[13:14], v[25:26]
	v_add_co_u32 v13, vcc_lo, v57, s35
	v_add_co_ci_u32_e64 v14, null, s36, v61, vcc_lo
	v_lshlrev_b64 v[13:14], 3, v[13:14]
	v_add_co_u32 v13, vcc_lo, s8, v13
	v_add_co_ci_u32_e64 v14, null, s9, v14, vcc_lo
	global_load_dwordx2 v[47:48], v[13:14], off offset:-16
	v_add_nc_u32_e32 v13, s28, v55
	v_ashrrev_i32_e32 v14, 31, v13
	v_lshlrev_b64 v[96:97], 3, v[13:14]
	v_add_co_u32 v19, vcc_lo, s8, v96
	v_add_co_ci_u32_e64 v20, null, s9, v97, vcc_lo
	s_clause 0x1
	global_load_dwordx4 v[13:16], v[19:20], off offset:8
	global_load_dwordx4 v[25:28], v[19:20], off offset:-8
	s_waitcnt vmcnt(0)
	v_add_f64 v[21:22], v[25:26], -v[27:28]
	v_add_f64 v[19:20], v[47:48], -v[27:28]
	v_mul_f64 v[11:12], v[11:12], v[21:22]
	v_fma_f64 v[9:10], v[9:10], v[19:20], v[11:12]
	v_add_f64 v[11:12], v[13:14], -v[27:28]
	v_fma_f64 v[9:10], v[38:39], v[11:12], v[9:10]
	v_add_f64 v[11:12], v[15:16], -v[27:28]
	v_fma_f64 v[9:10], v[40:41], v[11:12], v[9:10]
	v_mul_f64 v[9:10], v[9:10], s[0:1]
	v_fma_f64 v[25:26], v[51:52], v[9:10], 0
	v_add_nc_u32_e32 v9, s28, v46
	v_ashrrev_i32_e32 v10, 31, v9
	v_lshlrev_b64 v[10:11], 3, v[9:10]
	v_add_co_u32 v9, vcc_lo, s8, v10
	buffer_store_dword v10, off, s[44:47], 0 offset:644 ; 4-byte Folded Spill
	buffer_store_dword v11, off, s[44:47], 0 offset:648 ; 4-byte Folded Spill
	v_add_co_ci_u32_e64 v10, null, s9, v11, vcc_lo
	v_add_nc_u32_e32 v11, s28, v44
	global_load_dwordx2 v[9:10], v[9:10], off
	v_ashrrev_i32_e32 v12, 31, v11
	v_lshlrev_b64 v[12:13], 3, v[11:12]
	v_add_co_u32 v11, vcc_lo, s8, v12
	buffer_store_dword v12, off, s[44:47], 0 offset:660 ; 4-byte Folded Spill
	buffer_store_dword v13, off, s[44:47], 0 offset:664 ; 4-byte Folded Spill
	s_waitcnt vmcnt(0)
	v_add_f64 v[9:10], v[9:10], -v[27:28]
	v_add_co_ci_u32_e64 v12, null, s9, v13, vcc_lo
	global_load_dwordx2 v[11:12], v[11:12], off
	s_waitcnt vmcnt(0)
	v_add_f64 v[11:12], v[11:12], -v[27:28]
	v_mul_f64 v[11:12], v[34:35], v[11:12]
	v_fma_f64 v[9:10], v[32:33], v[9:10], v[11:12]
	v_add_nc_u32_e32 v11, s28, v42
	v_ashrrev_i32_e32 v12, 31, v11
	v_lshlrev_b64 v[12:13], 3, v[11:12]
	v_add_co_u32 v11, vcc_lo, s8, v12
	buffer_store_dword v12, off, s[44:47], 0 offset:652 ; 4-byte Folded Spill
	buffer_store_dword v13, off, s[44:47], 0 offset:656 ; 4-byte Folded Spill
	v_add_co_ci_u32_e64 v12, null, s9, v13, vcc_lo
	global_load_dwordx2 v[11:12], v[11:12], off
	s_waitcnt vmcnt(0)
	v_add_f64 v[11:12], v[11:12], -v[27:28]
	v_fma_f64 v[9:10], v[17:18], v[11:12], v[9:10]
	v_add_nc_u32_e32 v11, s28, v36
	v_ashrrev_i32_e32 v12, 31, v11
	v_lshlrev_b64 v[12:13], 3, v[11:12]
	v_add_co_u32 v11, vcc_lo, s8, v12
	buffer_store_dword v12, off, s[44:47], 0 offset:668 ; 4-byte Folded Spill
	buffer_store_dword v13, off, s[44:47], 0 offset:672 ; 4-byte Folded Spill
	v_add_co_ci_u32_e64 v12, null, s9, v13, vcc_lo
	global_load_dwordx2 v[11:12], v[11:12], off
	s_waitcnt vmcnt(0)
	v_add_f64 v[11:12], v[11:12], -v[27:28]
	v_fma_f64 v[9:10], v[30:31], v[11:12], v[9:10]
	v_mul_f64 v[9:10], v[9:10], s[0:1]
	s_add_i32 s0, s19, -7
	s_sub_i32 s1, 0, s22
	s_sub_i32 s38, s0, s38
	s_mul_i32 s38, s38, s37
	s_mov_b32 s37, s0
	v_add3_u32 v93, s40, s38, v75
	v_mad_u64_u32 v[91:92], null, v93, s21, v[67:68]
	v_fma_f64 v[105:106], v[53:54], v[9:10], v[25:26]
	v_add3_u32 v9, s40, s39, v75
	v_mad_u64_u32 v[24:25], null, v88, s21, v[67:68]
	v_sub_nc_u32_e32 v25, s19, v79
	v_mad_u64_u32 v[59:60], null, v9, s21, v[67:68]
	v_add_nc_u32_e32 v21, 0x17a, v25
.LBB4_2:                                ; =>This Loop Header: Depth=1
                                        ;     Child Loop BB4_3 Depth 2
	v_mov_b32_e32 v9, 0
	v_mov_b32_e32 v17, 0
	;; [unrolled: 1-line block ×8, first 2 shown]
	v_add_nc_u32_e32 v13, s18, v91
	v_add_nc_u32_e32 v14, s18, v59
	;; [unrolled: 1-line block ×3, first 2 shown]
	v_mov_b32_e32 v18, 0
	v_mov_b32_e32 v12, 0
	;; [unrolled: 1-line block ×5, first 2 shown]
	v_add_nc_u32_e32 v16, s18, v69
	s_mov_b32 s38, s30
.LBB4_3:                                ;   Parent Loop BB4_2 Depth=1
                                        ; =>  This Inner Loop Header: Depth=2
	v_ashrrev_i32_e32 v33, 31, v32
	s_add_i32 s38, s38, 1
	s_cmp_ge_i32 s38, s19
	v_lshlrev_b64 v[19:20], 3, v[32:33]
	v_subrev_nc_u32_e32 v32, 48, v32
	v_add_co_u32 v19, vcc_lo, s24, v19
	v_add_co_ci_u32_e64 v20, null, s25, v20, vcc_lo
	global_load_dwordx2 v[38:39], v[19:20], off
	v_add_nc_u32_e32 v19, s1, v13
	v_add_nc_u32_e32 v13, s20, v13
	v_ashrrev_i32_e32 v20, 31, v19
	v_lshlrev_b64 v[19:20], 3, v[19:20]
	v_add_co_u32 v22, vcc_lo, s10, v19
	v_add_co_ci_u32_e64 v23, null, s11, v20, vcc_lo
	v_add_co_u32 v19, vcc_lo, s12, v19
	v_add_co_ci_u32_e64 v20, null, s13, v20, vcc_lo
	global_load_dwordx2 v[40:41], v[22:23], off
	v_add_nc_u32_e32 v22, s1, v14
	v_add_nc_u32_e32 v14, s20, v14
	global_load_dwordx2 v[42:43], v[19:20], off
	v_add_nc_u32_e32 v19, s1, v16
	v_add_nc_u32_e32 v16, s20, v16
	v_ashrrev_i32_e32 v23, 31, v22
	v_ashrrev_i32_e32 v20, 31, v19
	v_lshlrev_b64 v[22:23], 3, v[22:23]
	v_lshlrev_b64 v[19:20], 3, v[19:20]
	v_add_co_u32 v19, vcc_lo, s14, v19
	v_add_co_ci_u32_e64 v20, null, s15, v20, vcc_lo
	global_load_dwordx2 v[36:37], v[19:20], off
	s_waitcnt vmcnt(1)
	v_fma_f64 v[44:45], v[40:41], 2.0, v[42:43]
	s_waitcnt vmcnt(0)
	v_mul_f64 v[19:20], v[44:45], v[36:37]
	v_mul_f64 v[19:20], v[1:2], v[19:20]
	;; [unrolled: 1-line block ×3, first 2 shown]
	v_add_nc_u32_e32 v19, s1, v15
	v_add_nc_u32_e32 v15, s20, v15
	v_ashrrev_i32_e32 v20, 31, v19
	v_lshlrev_b64 v[19:20], 3, v[19:20]
	v_add_co_u32 v19, vcc_lo, s14, v19
	v_add_co_ci_u32_e64 v20, null, s15, v20, vcc_lo
	v_add_co_u32 v22, vcc_lo, s14, v22
	v_add_co_ci_u32_e64 v23, null, s15, v23, vcc_lo
	s_clause 0x1
	global_load_dwordx2 v[46:47], v[19:20], off
	global_load_dwordx2 v[22:23], v[22:23], off
	s_waitcnt vmcnt(1)
	v_mul_f64 v[19:20], v[5:6], v[46:47]
	s_waitcnt vmcnt(0)
	v_mul_f64 v[70:71], v[22:23], v[22:23]
	v_mul_f64 v[19:20], v[46:47], v[19:20]
	;; [unrolled: 1-line block ×3, first 2 shown]
	v_fma_f64 v[74:75], v[22:23], v[22:23], v[19:20]
	v_mul_f64 v[74:75], v[40:41], v[74:75]
	v_fma_f64 v[55:56], v[1:2], v[55:56], v[74:75]
	v_mul_f64 v[74:75], v[1:2], v[36:37]
	;; [unrolled: 2-line block ×3, first 2 shown]
	v_mul_f64 v[55:56], v[44:45], v[46:47]
	v_mul_f64 v[44:45], v[44:45], v[22:23]
	v_fma_f64 v[19:20], v[1:2], v[74:75], v[19:20]
	v_mul_f64 v[55:56], v[5:6], v[55:56]
	v_fma_f64 v[70:71], v[1:2], v[74:75], v[70:71]
	v_mul_f64 v[19:20], v[40:41], v[19:20]
	v_mul_f64 v[55:56], v[46:47], v[55:56]
	;; [unrolled: 1-line block ×3, first 2 shown]
	v_fma_f64 v[19:20], v[22:23], v[44:45], v[19:20]
	v_fma_f64 v[55:56], v[5:6], v[55:56], v[70:71]
	;; [unrolled: 1-line block ×3, first 2 shown]
	v_add_f64 v[19:20], v[40:41], v[42:43]
	v_fma_f64 v[17:18], v[38:39], v[55:56], v[17:18]
	v_mul_f64 v[19:20], v[38:39], v[19:20]
	v_mul_f64 v[36:37], v[36:37], v[19:20]
	;; [unrolled: 1-line block ×3, first 2 shown]
	v_fma_f64 v[26:27], v[46:47], v[36:37], v[26:27]
	v_fma_f64 v[30:31], v[36:37], v[22:23], v[30:31]
	;; [unrolled: 1-line block ×3, first 2 shown]
	s_cbranch_scc0 .LBB4_3
; %bb.4:                                ;   in Loop: Header=BB4_2 Depth=1
	v_mad_u64_u32 v[15:16], null, s37, s20, v[29:30]
	v_mul_f64 v[13:14], v[99:100], v[34:35]
	v_mul_f64 v[30:31], v[51:52], v[30:31]
	;; [unrolled: 1-line block ×4, first 2 shown]
	v_add_nc_u32_e32 v21, -6, v21
	s_add_i32 s38, s37, 1
	v_ashrrev_i32_e32 v16, 31, v15
	s_cmp_ge_i32 s37, s19
	v_lshlrev_b64 v[19:20], 3, v[15:16]
	v_add_nc_u32_e32 v15, s28, v15
	v_ashrrev_i32_e32 v16, 31, v15
	v_add_co_u32 v19, vcc_lo, s8, v19
	v_add_co_ci_u32_e64 v20, null, s9, v20, vcc_lo
	v_lshlrev_b64 v[22:23], 3, v[15:16]
	v_add_nc_u32_e32 v15, s28, v15
	global_load_dwordx2 v[19:20], v[19:20], off
	v_ashrrev_i32_e32 v16, 31, v15
	v_add_co_u32 v22, vcc_lo, s8, v22
	v_add_co_ci_u32_e64 v23, null, s9, v23, vcc_lo
	v_lshlrev_b64 v[15:16], 3, v[15:16]
	global_load_dwordx2 v[22:23], v[22:23], off
	v_add_co_u32 v15, vcc_lo, s8, v15
	v_add_co_ci_u32_e64 v16, null, s9, v16, vcc_lo
	global_load_dwordx2 v[15:16], v[15:16], off
	s_waitcnt vmcnt(1)
	v_mul_f64 v[32:33], v[26:27], v[22:23]
	v_fma_f64 v[13:14], v[13:14], v[19:20], v[32:33]
	s_waitcnt vmcnt(0)
	v_fma_f64 v[13:14], v[30:31], v[15:16], v[13:14]
	v_add_f64 v[109:110], v[109:110], v[13:14]
	v_mul_f64 v[13:14], v[99:100], v[17:18]
	v_mul_f64 v[13:14], v[13:14], v[22:23]
	v_fma_f64 v[13:14], v[26:27], v[19:20], v[13:14]
	v_fma_f64 v[13:14], v[11:12], v[15:16], v[13:14]
	v_mul_f64 v[11:12], v[11:12], v[22:23]
	v_add_f64 v[81:82], v[81:82], v[13:14]
	v_fma_f64 v[11:12], v[30:31], v[19:20], v[11:12]
	v_fma_f64 v[9:10], v[9:10], v[15:16], v[11:12]
	v_add_f64 v[105:106], v[105:106], v[9:10]
	s_cbranch_scc1 .LBB4_6
; %bb.5:                                ;   in Loop: Header=BB4_2 Depth=1
	s_mov_b32 s37, s38
	s_branch .LBB4_2
.LBB4_6:
	buffer_store_dword v24, off, s[44:47], 0 offset:800 ; 4-byte Folded Spill
	buffer_store_dword v25, off, s[44:47], 0 offset:804 ; 4-byte Folded Spill
	;; [unrolled: 1-line block ×8, first 2 shown]
	s_mul_i32 s1, s19, s20
	v_add_nc_u32_e32 v12, s34, v68
	v_add_nc_u32_e32 v11, s34, v63
	;; [unrolled: 1-line block ×4, first 2 shown]
	v_mov_b32_e32 v82, 0
	v_mov_b32_e32 v103, 0
	v_add_nc_u32_e32 v18, v80, v11
	v_add_nc_u32_e32 v21, v80, v10
	v_mov_b32_e32 v74, 0
	v_mov_b32_e32 v89, 0
	v_mov_b32_e32 v78, 0
	v_mov_b32_e32 v84, 0
	v_mov_b32_e32 v117, 0
	v_mov_b32_e32 v111, 0
	v_mov_b32_e32 v83, 0
	v_mov_b32_e32 v104, 0
	v_mov_b32_e32 v75, 0
	v_mov_b32_e32 v90, 0
	v_mov_b32_e32 v79, 0
	v_mov_b32_e32 v85, 0
	v_mov_b32_e32 v118, 0
	v_mov_b32_e32 v112, 0
	s_mul_i32 s0, s20, s0
	v_ashrrev_i32_e32 v26, 31, v25
	v_add_nc_u32_e32 v70, 42, v25
	v_lshlrev_b64 v[13:14], 3, v[25:26]
	v_mov_b32_e32 v25, v70
	v_add_co_u32 v13, vcc_lo, s26, v13
	v_add_co_ci_u32_e64 v14, null, s27, v14, vcc_lo
	global_load_dwordx2 v[13:14], v[13:14], off
	s_waitcnt vmcnt(0)
	buffer_store_dword v13, off, s[44:47], 0 offset:692 ; 4-byte Folded Spill
	buffer_store_dword v14, off, s[44:47], 0 offset:696 ; 4-byte Folded Spill
	v_add_nc_u32_e32 v13, s1, v29
	v_ashrrev_i32_e32 v14, 31, v13
	v_lshlrev_b64 v[14:15], 3, v[13:14]
	v_add_nc_u32_e32 v13, s20, v13
	v_add_co_u32 v16, vcc_lo, s10, v14
	v_add_co_ci_u32_e64 v17, null, s11, v15, vcc_lo
	v_add_co_u32 v14, vcc_lo, s12, v14
	v_add_co_ci_u32_e64 v15, null, s13, v15, vcc_lo
	global_load_dwordx2 v[16:17], v[16:17], off
	s_waitcnt vmcnt(0)
	buffer_store_dword v16, off, s[44:47], 0 offset:708 ; 4-byte Folded Spill
	buffer_store_dword v17, off, s[44:47], 0 offset:712 ; 4-byte Folded Spill
	global_load_dwordx2 v[14:15], v[14:15], off
	v_add_nc_u32_e32 v17, v80, v12
	s_waitcnt vmcnt(0)
	buffer_store_dword v14, off, s[44:47], 0 offset:700 ; 4-byte Folded Spill
	buffer_store_dword v15, off, s[44:47], 0 offset:704 ; 4-byte Folded Spill
	v_add3_u32 v14, s31, s1, v58
	s_mov_b32 s1, s30
	v_ashrrev_i32_e32 v15, 31, v14
	v_lshlrev_b64 v[15:16], 3, v[14:15]
	v_add_nc_u32_e32 v14, s28, v14
	v_add_co_u32 v15, vcc_lo, s14, v15
	v_add_co_ci_u32_e64 v16, null, s15, v16, vcc_lo
	global_load_dwordx2 v[15:16], v[15:16], off
	s_waitcnt vmcnt(0)
	buffer_store_dword v15, off, s[44:47], 0 offset:716 ; 4-byte Folded Spill
	buffer_store_dword v16, off, s[44:47], 0 offset:720 ; 4-byte Folded Spill
	v_ashrrev_i32_e32 v15, 31, v14
	v_lshlrev_b64 v[15:16], 3, v[14:15]
	v_add_nc_u32_e32 v14, s28, v14
	v_add_co_u32 v15, vcc_lo, s14, v15
	v_add_co_ci_u32_e64 v16, null, s15, v16, vcc_lo
	global_load_dwordx2 v[15:16], v[15:16], off
	s_waitcnt vmcnt(0)
	buffer_store_dword v15, off, s[44:47], 0 offset:740 ; 4-byte Folded Spill
	buffer_store_dword v16, off, s[44:47], 0 offset:744 ; 4-byte Folded Spill
	v_ashrrev_i32_e32 v15, 31, v14
	v_lshlrev_b64 v[14:15], 3, v[14:15]
	v_add_co_u32 v14, vcc_lo, s14, v14
	v_add_co_ci_u32_e64 v15, null, s15, v15, vcc_lo
	global_load_dwordx2 v[14:15], v[14:15], off
	s_waitcnt vmcnt(0)
	buffer_store_dword v14, off, s[44:47], 0 offset:760 ; 4-byte Folded Spill
	buffer_store_dword v15, off, s[44:47], 0 offset:764 ; 4-byte Folded Spill
	v_ashrrev_i32_e32 v14, 31, v13
	v_lshlrev_b64 v[14:15], 3, v[13:14]
	v_add_nc_u32_e32 v13, s28, v13
	v_add_co_u32 v14, vcc_lo, s8, v14
	v_add_co_ci_u32_e64 v15, null, s9, v15, vcc_lo
	global_load_dwordx2 v[14:15], v[14:15], off
	s_waitcnt vmcnt(0)
	buffer_store_dword v14, off, s[44:47], 0 offset:724 ; 4-byte Folded Spill
	buffer_store_dword v15, off, s[44:47], 0 offset:728 ; 4-byte Folded Spill
	v_ashrrev_i32_e32 v14, 31, v13
	v_lshlrev_b64 v[14:15], 3, v[13:14]
	v_add_nc_u32_e32 v13, s28, v13
	v_add_co_u32 v14, vcc_lo, s8, v14
	v_add_co_ci_u32_e64 v15, null, s9, v15, vcc_lo
	global_load_dwordx2 v[14:15], v[14:15], off
	s_waitcnt vmcnt(0)
	buffer_store_dword v14, off, s[44:47], 0 offset:732 ; 4-byte Folded Spill
	buffer_store_dword v15, off, s[44:47], 0 offset:736 ; 4-byte Folded Spill
	v_ashrrev_i32_e32 v14, 31, v13
	v_lshlrev_b64 v[13:14], 3, v[13:14]
	v_add_co_u32 v13, vcc_lo, s8, v13
	v_add_co_ci_u32_e64 v14, null, s9, v14, vcc_lo
	global_load_dwordx2 v[13:14], v[13:14], off
	s_waitcnt vmcnt(0)
	buffer_store_dword v13, off, s[44:47], 0 offset:684 ; 4-byte Folded Spill
	buffer_store_dword v14, off, s[44:47], 0 offset:688 ; 4-byte Folded Spill
	v_add_nc_u32_e32 v13, s31, v17
	v_ashrrev_i32_e32 v14, 31, v13
	v_lshlrev_b64 v[13:14], 3, v[13:14]
	v_add_co_u32 v13, vcc_lo, s8, v13
	v_add_co_ci_u32_e64 v14, null, s9, v14, vcc_lo
	global_load_dwordx2 v[13:14], v[13:14], off
	s_waitcnt vmcnt(0)
	buffer_store_dword v13, off, s[44:47], 0 offset:816 ; 4-byte Folded Spill
	buffer_store_dword v14, off, s[44:47], 0 offset:820 ; 4-byte Folded Spill
	v_add_nc_u32_e32 v13, s31, v18
	;; [unrolled: 9-line block ×4, first 2 shown]
	v_mov_b32_e32 v80, 0
	v_mov_b32_e32 v81, 0
	v_add_nc_u32_e32 v14, s31, v13
	v_ashrrev_i32_e32 v15, 31, v14
	v_lshlrev_b64 v[14:15], 3, v[14:15]
	v_add_co_u32 v14, vcc_lo, s8, v14
	v_add_co_ci_u32_e64 v15, null, s9, v15, vcc_lo
	global_load_dwordx2 v[14:15], v[14:15], off
	s_waitcnt vmcnt(0)
	buffer_store_dword v14, off, s[44:47], 0 offset:72 ; 4-byte Folded Spill
	buffer_store_dword v15, off, s[44:47], 0 offset:76 ; 4-byte Folded Spill
	v_add_nc_u32_e32 v14, v76, v12
	v_add_nc_u32_e32 v15, s31, v14
	v_ashrrev_i32_e32 v16, 31, v15
	v_lshlrev_b64 v[15:16], 3, v[15:16]
	v_add_co_u32 v15, vcc_lo, s8, v15
	v_add_co_ci_u32_e64 v16, null, s9, v16, vcc_lo
	global_load_dwordx2 v[15:16], v[15:16], off
	s_waitcnt vmcnt(0)
	buffer_store_dword v15, off, s[44:47], 0 offset:824 ; 4-byte Folded Spill
	buffer_store_dword v16, off, s[44:47], 0 offset:828 ; 4-byte Folded Spill
	v_add_nc_u32_e32 v15, v76, v11
	v_add_nc_u32_e32 v16, v76, v10
	;; [unrolled: 1-line block ×3, first 2 shown]
	v_ashrrev_i32_e32 v20, 31, v19
	v_lshlrev_b64 v[19:20], 3, v[19:20]
	v_add_co_u32 v19, vcc_lo, s8, v19
	v_add_co_ci_u32_e64 v20, null, s9, v20, vcc_lo
	global_load_dwordx2 v[49:50], v[19:20], off
	v_add_nc_u32_e32 v19, s31, v16
	v_ashrrev_i32_e32 v20, 31, v19
	v_lshlrev_b64 v[19:20], 3, v[19:20]
	v_add_co_u32 v19, vcc_lo, s8, v19
	v_add_co_ci_u32_e64 v20, null, s9, v20, vcc_lo
	global_load_dwordx2 v[39:40], v[19:20], off
	v_add_nc_u32_e32 v19, v76, v9
	v_add_nc_u32_e32 v20, v66, v12
	v_add_nc_u32_e32 v12, v62, v12
	v_add_nc_u32_e32 v22, s31, v19
	v_ashrrev_i32_e32 v23, 31, v22
	v_lshlrev_b64 v[22:23], 3, v[22:23]
	v_add_co_u32 v22, vcc_lo, s8, v22
	v_add_co_ci_u32_e64 v23, null, s9, v23, vcc_lo
	global_load_dwordx2 v[71:72], v[22:23], off
	v_add_nc_u32_e32 v22, s31, v20
	v_ashrrev_i32_e32 v23, 31, v22
	v_lshlrev_b64 v[22:23], 3, v[22:23]
	v_add_co_u32 v22, vcc_lo, s8, v22
	v_add_co_ci_u32_e64 v23, null, s9, v23, vcc_lo
	global_load_dwordx2 v[22:23], v[22:23], off
	s_waitcnt vmcnt(0)
	buffer_store_dword v22, off, s[44:47], 0 offset:776 ; 4-byte Folded Spill
	buffer_store_dword v23, off, s[44:47], 0 offset:780 ; 4-byte Folded Spill
	v_add_nc_u32_e32 v22, v66, v11
	v_add_nc_u32_e32 v11, v62, v11
	;; [unrolled: 1-line block ×3, first 2 shown]
	v_ashrrev_i32_e32 v24, 31, v23
	v_lshlrev_b64 v[23:24], 3, v[23:24]
	v_add_co_u32 v23, vcc_lo, s8, v23
	v_add_co_ci_u32_e64 v24, null, s9, v24, vcc_lo
	global_load_dwordx2 v[23:24], v[23:24], off
	s_waitcnt vmcnt(0)
	buffer_store_dword v23, off, s[44:47], 0 offset:784 ; 4-byte Folded Spill
	buffer_store_dword v24, off, s[44:47], 0 offset:788 ; 4-byte Folded Spill
	v_add_nc_u32_e32 v23, v66, v10
	v_add_nc_u32_e32 v24, v66, v9
	;; [unrolled: 1-line block ×5, first 2 shown]
	v_ashrrev_i32_e32 v27, 31, v26
	v_lshlrev_b64 v[26:27], 3, v[26:27]
	v_add_co_u32 v26, vcc_lo, s8, v26
	v_add_co_ci_u32_e64 v27, null, s9, v27, vcc_lo
	global_load_dwordx2 v[26:27], v[26:27], off
	s_waitcnt vmcnt(0)
	buffer_store_dword v26, off, s[44:47], 0 offset:80 ; 4-byte Folded Spill
	buffer_store_dword v27, off, s[44:47], 0 offset:84 ; 4-byte Folded Spill
	v_add_nc_u32_e32 v26, s31, v24
	v_ashrrev_i32_e32 v27, 31, v26
	v_lshlrev_b64 v[26:27], 3, v[26:27]
	v_add_co_u32 v26, vcc_lo, s8, v26
	v_add_co_ci_u32_e64 v27, null, s9, v27, vcc_lo
	global_load_dwordx2 v[26:27], v[26:27], off
	s_waitcnt vmcnt(0)
	buffer_store_dword v26, off, s[44:47], 0 offset:88 ; 4-byte Folded Spill
	buffer_store_dword v27, off, s[44:47], 0 offset:92 ; 4-byte Folded Spill
	v_add_nc_u32_e32 v26, s31, v12
	v_add_nc_u32_e32 v12, s28, v12
	v_ashrrev_i32_e32 v27, 31, v26
	v_lshlrev_b64 v[26:27], 3, v[26:27]
	v_add_co_u32 v26, vcc_lo, s8, v26
	v_add_co_ci_u32_e64 v27, null, s9, v27, vcc_lo
	global_load_dwordx2 v[51:52], v[26:27], off
	v_add_nc_u32_e32 v26, s31, v11
	v_add_nc_u32_e32 v11, s28, v11
	v_ashrrev_i32_e32 v27, 31, v26
	v_lshlrev_b64 v[26:27], 3, v[26:27]
	v_add_co_u32 v26, vcc_lo, s8, v26
	v_add_co_ci_u32_e64 v27, null, s9, v27, vcc_lo
	global_load_dwordx2 v[26:27], v[26:27], off
	s_waitcnt vmcnt(0)
	buffer_store_dword v26, off, s[44:47], 0 offset:792 ; 4-byte Folded Spill
	buffer_store_dword v27, off, s[44:47], 0 offset:796 ; 4-byte Folded Spill
	v_add_nc_u32_e32 v26, s31, v10
	v_add_nc_u32_e32 v10, s28, v10
	v_ashrrev_i32_e32 v27, 31, v26
	v_lshlrev_b64 v[26:27], 3, v[26:27]
	v_add_co_u32 v26, vcc_lo, s8, v26
	v_add_co_ci_u32_e64 v27, null, s9, v27, vcc_lo
	global_load_dwordx2 v[26:27], v[26:27], off
	s_waitcnt vmcnt(0)
	buffer_store_dword v26, off, s[44:47], 0 offset:96 ; 4-byte Folded Spill
	buffer_store_dword v27, off, s[44:47], 0 offset:100 ; 4-byte Folded Spill
	;; [unrolled: 10-line block ×3, first 2 shown]
	v_add_nc_u32_e32 v26, s28, v17
	v_add_nc_u32_e32 v17, s28, v18
	v_ashrrev_i32_e32 v27, 31, v26
	v_ashrrev_i32_e32 v18, 31, v17
	v_lshlrev_b64 v[26:27], 3, v[26:27]
	v_lshlrev_b64 v[17:18], 3, v[17:18]
	v_add_co_u32 v26, vcc_lo, s8, v26
	v_add_co_ci_u32_e64 v27, null, s9, v27, vcc_lo
	v_add_co_u32 v17, vcc_lo, s8, v17
	v_add_co_ci_u32_e64 v18, null, s9, v18, vcc_lo
	global_load_dwordx2 v[26:27], v[26:27], off
	s_waitcnt vmcnt(0)
	buffer_store_dword v26, off, s[44:47], 0 offset:112 ; 4-byte Folded Spill
	buffer_store_dword v27, off, s[44:47], 0 offset:116 ; 4-byte Folded Spill
	global_load_dwordx2 v[17:18], v[17:18], off
	s_waitcnt vmcnt(0)
	buffer_store_dword v17, off, s[44:47], 0 offset:120 ; 4-byte Folded Spill
	buffer_store_dword v18, off, s[44:47], 0 offset:124 ; 4-byte Folded Spill
	v_add_nc_u32_e32 v17, s28, v21
	v_ashrrev_i32_e32 v18, 31, v17
	v_lshlrev_b64 v[17:18], 3, v[17:18]
	v_add_co_u32 v17, vcc_lo, s8, v17
	v_add_co_ci_u32_e64 v18, null, s9, v18, vcc_lo
	global_load_dwordx2 v[17:18], v[17:18], off
	s_waitcnt vmcnt(0)
	buffer_store_dword v17, off, s[44:47], 0 offset:128 ; 4-byte Folded Spill
	buffer_store_dword v18, off, s[44:47], 0 offset:132 ; 4-byte Folded Spill
	v_add_nc_u32_e32 v17, s28, v13
	v_add_nc_u32_e32 v13, s28, v14
	v_ashrrev_i32_e32 v18, 31, v17
	v_ashrrev_i32_e32 v14, 31, v13
	v_lshlrev_b64 v[17:18], 3, v[17:18]
	v_lshlrev_b64 v[13:14], 3, v[13:14]
	v_add_co_u32 v17, vcc_lo, s8, v17
	v_add_co_ci_u32_e64 v18, null, s9, v18, vcc_lo
	v_add_co_u32 v13, vcc_lo, s8, v13
	v_add_co_ci_u32_e64 v14, null, s9, v14, vcc_lo
	global_load_dwordx2 v[17:18], v[17:18], off
	s_waitcnt vmcnt(0)
	buffer_store_dword v17, off, s[44:47], 0 offset:136 ; 4-byte Folded Spill
	buffer_store_dword v18, off, s[44:47], 0 offset:140 ; 4-byte Folded Spill
	global_load_dwordx2 v[13:14], v[13:14], off
	v_mov_b32_e32 v17, 0
	v_mov_b32_e32 v18, 0
	s_waitcnt vmcnt(0)
	buffer_store_dword v13, off, s[44:47], 0 offset:144 ; 4-byte Folded Spill
	buffer_store_dword v14, off, s[44:47], 0 offset:148 ; 4-byte Folded Spill
	v_add_nc_u32_e32 v13, s28, v15
	v_ashrrev_i32_e32 v14, 31, v13
	v_lshlrev_b64 v[13:14], 3, v[13:14]
	v_add_co_u32 v13, vcc_lo, s8, v13
	v_add_co_ci_u32_e64 v14, null, s9, v14, vcc_lo
	global_load_dwordx2 v[13:14], v[13:14], off
	s_waitcnt vmcnt(0)
	buffer_store_dword v13, off, s[44:47], 0 offset:152 ; 4-byte Folded Spill
	buffer_store_dword v14, off, s[44:47], 0 offset:156 ; 4-byte Folded Spill
	v_add_nc_u32_e32 v13, s28, v16
	v_ashrrev_i32_e32 v14, 31, v13
	v_lshlrev_b64 v[13:14], 3, v[13:14]
	v_add_co_u32 v13, vcc_lo, s8, v13
	v_add_co_ci_u32_e64 v14, null, s9, v14, vcc_lo
	global_load_dwordx2 v[13:14], v[13:14], off
	;; [unrolled: 9-line block ×7, first 2 shown]
	s_waitcnt vmcnt(0)
	buffer_store_dword v13, off, s[44:47], 0 offset:200 ; 4-byte Folded Spill
	buffer_store_dword v14, off, s[44:47], 0 offset:204 ; 4-byte Folded Spill
	v_ashrrev_i32_e32 v13, 31, v12
	v_lshlrev_b64 v[12:13], 3, v[12:13]
	v_add_co_u32 v12, vcc_lo, s8, v12
	v_add_co_ci_u32_e64 v13, null, s9, v13, vcc_lo
	global_load_dwordx2 v[12:13], v[12:13], off
	s_waitcnt vmcnt(0)
	buffer_store_dword v12, off, s[44:47], 0 offset:808 ; 4-byte Folded Spill
	buffer_store_dword v13, off, s[44:47], 0 offset:812 ; 4-byte Folded Spill
	v_ashrrev_i32_e32 v12, 31, v11
	v_lshlrev_b64 v[11:12], 3, v[11:12]
	v_add_co_u32 v11, vcc_lo, s8, v11
	v_add_co_ci_u32_e64 v12, null, s9, v12, vcc_lo
	global_load_dwordx2 v[11:12], v[11:12], off
	s_waitcnt vmcnt(0)
	buffer_store_dword v11, off, s[44:47], 0 offset:208 ; 4-byte Folded Spill
	buffer_store_dword v12, off, s[44:47], 0 offset:212 ; 4-byte Folded Spill
	v_ashrrev_i32_e32 v11, 31, v10
	v_lshlrev_b64 v[10:11], 3, v[10:11]
	v_add_co_u32 v10, vcc_lo, s8, v10
	v_add_co_ci_u32_e64 v11, null, s9, v11, vcc_lo
	global_load_dwordx2 v[10:11], v[10:11], off
	s_waitcnt vmcnt(0)
	buffer_store_dword v10, off, s[44:47], 0 offset:216 ; 4-byte Folded Spill
	buffer_store_dword v11, off, s[44:47], 0 offset:220 ; 4-byte Folded Spill
	v_ashrrev_i32_e32 v10, 31, v9
	v_mov_b32_e32 v11, 0
	v_mov_b32_e32 v12, 0
	v_lshlrev_b64 v[9:10], 3, v[9:10]
	v_add_co_u32 v9, vcc_lo, s8, v9
	v_add_co_ci_u32_e64 v10, null, s9, v10, vcc_lo
	global_load_dwordx2 v[9:10], v[9:10], off
	s_waitcnt vmcnt(0)
	buffer_store_dword v9, off, s[44:47], 0 offset:224 ; 4-byte Folded Spill
	buffer_store_dword v10, off, s[44:47], 0 offset:228 ; 4-byte Folded Spill
	v_mov_b32_e32 v9, 0
	v_mov_b32_e32 v10, 0
.LBB4_7:                                ; =>This Inner Loop Header: Depth=1
	v_ashrrev_i32_e32 v26, 31, v25
	s_ashr_i32 s24, s0, 31
	s_add_i32 s1, s1, 1
	v_lshlrev_b64 v[13:14], 3, v[25:26]
	v_add_nc_u32_e32 v25, -6, v25
	v_add_co_u32 v13, vcc_lo, s6, v13
	v_add_co_ci_u32_e64 v14, null, s7, v14, vcc_lo
	v_add_co_u32 v28, vcc_lo, s0, v58
	s_add_i32 s0, s0, s20
	global_load_dwordx2 v[26:27], v[13:14], off
	v_ashrrev_i32_e32 v13, 31, v58
	s_cmp_ge_i32 s1, s19
	v_add_co_ci_u32_e64 v29, null, s24, v13, vcc_lo
	v_add_co_u32 v13, vcc_lo, v28, s28
	v_add_co_ci_u32_e64 v14, null, s29, v29, vcc_lo
	v_lshlrev_b64 v[13:14], 3, v[13:14]
	v_add_co_u32 v23, vcc_lo, s8, v13
	v_add_co_ci_u32_e64 v24, null, s9, v14, vcc_lo
	global_load_dwordx4 v[13:16], v[23:24], off offset:-16
	s_waitcnt vmcnt(0)
	v_fma_f64 v[111:112], -v[26:27], v[13:14], v[111:112]
	v_add_co_u32 v13, vcc_lo, v28, s31
	v_add_co_ci_u32_e64 v14, null, s33, v29, vcc_lo
	v_fma_f64 v[80:81], -v[26:27], v[15:16], v[80:81]
	v_lshlrev_b64 v[13:14], 3, v[13:14]
	v_add_co_u32 v32, vcc_lo, s8, v13
	v_add_co_ci_u32_e64 v33, null, s9, v14, vcc_lo
	v_add_co_u32 v13, vcc_lo, v28, s35
	v_add_co_ci_u32_e64 v14, null, s36, v29, vcc_lo
	global_load_dwordx4 v[19:22], v[32:33], off offset:-16
	v_lshlrev_b64 v[13:14], 3, v[13:14]
	v_add_co_u32 v34, vcc_lo, s8, v13
	v_add_co_ci_u32_e64 v35, null, s9, v14, vcc_lo
	s_clause 0x1
	global_load_dwordx4 v[13:16], v[23:24], off offset:8
	global_load_dwordx4 v[28:31], v[34:35], off offset:-16
	s_waitcnt vmcnt(2)
	v_fma_f64 v[11:12], -v[26:27], v[19:20], v[11:12]
	v_fma_f64 v[78:79], -v[26:27], v[21:22], v[78:79]
	global_load_dwordx4 v[19:22], v[32:33], off offset:8
	s_waitcnt vmcnt(2)
	v_fma_f64 v[84:85], -v[26:27], v[15:16], v[84:85]
	v_fma_f64 v[117:118], -v[26:27], v[13:14], v[117:118]
	s_waitcnt vmcnt(1)
	v_fma_f64 v[9:10], -v[26:27], v[28:29], v[9:10]
	v_fma_f64 v[74:75], -v[26:27], v[30:31], v[74:75]
	s_waitcnt vmcnt(0)
	v_fma_f64 v[89:90], -v[26:27], v[21:22], v[89:90]
	global_load_dwordx4 v[21:24], v[34:35], off offset:8
	v_fma_f64 v[17:18], -v[26:27], v[19:20], v[17:18]
	s_waitcnt vmcnt(0)
	v_fma_f64 v[82:83], -v[26:27], v[23:24], v[82:83]
	v_fma_f64 v[103:104], -v[26:27], v[21:22], v[103:104]
	s_cbranch_scc0 .LBB4_7
; %bb.8:
	s_lshl_b32 s24, s28, 2
	buffer_store_dword v99, off, s[44:47], 0 offset:768 ; 4-byte Folded Spill
	buffer_store_dword v100, off, s[44:47], 0 offset:772 ; 4-byte Folded Spill
	;; [unrolled: 1-line block ×4, first 2 shown]
	s_ashr_i32 s0, s24, 31
	v_add_co_u32 v13, vcc_lo, v57, s24
	v_add_co_ci_u32_e64 v14, null, s0, v61, vcc_lo
	v_add_co_u32 v15, vcc_lo, s14, v94
	buffer_store_dword v94, off, s[44:47], 0 offset:344 ; 4-byte Folded Spill
	buffer_store_dword v95, off, s[44:47], 0 offset:348 ; 4-byte Folded Spill
	v_lshlrev_b64 v[13:14], 3, v[13:14]
	s_mul_i32 s0, s23, 3
	s_lshl_b32 s1, s22, 2
	s_add_i32 s17, s17, s16
	v_mov_b32_e32 v121, 0
	v_mov_b32_e32 v123, 0
	;; [unrolled: 1-line block ×17, first 2 shown]
	v_add_co_ci_u32_e64 v16, null, s15, v95, vcc_lo
	v_add_co_u32 v19, vcc_lo, s14, v96
	buffer_store_dword v96, off, s[44:47], 0 offset:500 ; 4-byte Folded Spill
	buffer_store_dword v97, off, s[44:47], 0 offset:504 ; 4-byte Folded Spill
	global_load_dwordx4 v[21:24], v[15:16], off offset:8
	v_mov_b32_e32 v94, 0
	v_mov_b32_e32 v95, 0
	s_waitcnt vmcnt(0)
	buffer_store_dword v21, off, s[44:47], 0 offset:832 ; 4-byte Folded Spill
	buffer_store_dword v22, off, s[44:47], 0 offset:836 ; 4-byte Folded Spill
	;; [unrolled: 1-line block ×4, first 2 shown]
	v_add_co_ci_u32_e64 v20, null, s15, v97, vcc_lo
	s_clause 0x1
	global_load_dwordx4 v[45:48], v[15:16], off offset:-16
	global_load_dwordx4 v[21:24], v[19:20], off offset:8
	v_add_co_u32 v13, vcc_lo, s14, v13
	v_add_co_ci_u32_e64 v14, null, s15, v14, vcc_lo
	v_add_nc_u32_e32 v15, -2, v88
	s_waitcnt vmcnt(0)
	buffer_store_dword v21, off, s[44:47], 0 offset:864 ; 4-byte Folded Spill
	buffer_store_dword v22, off, s[44:47], 0 offset:868 ; 4-byte Folded Spill
	;; [unrolled: 1-line block ×4, first 2 shown]
	global_load_dwordx4 v[19:22], v[19:20], off offset:-16
	v_mul_lo_u32 v15, v15, s21
	s_waitcnt vmcnt(0)
	buffer_store_dword v19, off, s[44:47], 0 offset:880 ; 4-byte Folded Spill
	buffer_store_dword v20, off, s[44:47], 0 offset:884 ; 4-byte Folded Spill
	;; [unrolled: 1-line block ×4, first 2 shown]
	global_load_dwordx4 v[19:22], v[13:14], off offset:8
	s_waitcnt vmcnt(0)
	buffer_store_dword v19, off, s[44:47], 0 offset:848 ; 4-byte Folded Spill
	buffer_store_dword v20, off, s[44:47], 0 offset:852 ; 4-byte Folded Spill
	;; [unrolled: 1-line block ×4, first 2 shown]
	global_load_dwordx4 v[34:37], v[13:14], off offset:-16
	v_add_nc_u32_e32 v13, -2, v93
	v_add_nc_u32_e32 v14, -2, v87
	v_add_nc_u32_e32 v21, v67, v15
	v_mov_b32_e32 v87, 0
	v_mov_b32_e32 v92, 0
	v_mul_lo_u32 v13, v13, s21
	v_mul_lo_u32 v14, v14, s21
	s_lshl_b32 s21, s23, 2
	v_add_nc_u32_e32 v23, s0, v21
	v_subrev_nc_u32_e32 v116, s22, v21
	v_mov_b32_e32 v88, 0
	v_mov_b32_e32 v93, 0
	v_add_nc_u32_e32 v16, v67, v13
	v_add_nc_u32_e32 v20, v67, v14
	v_mov_b32_e32 v67, 0
	v_mov_b32_e32 v68, 0
	v_add_nc_u32_e32 v19, s0, v16
	v_add_nc_u32_e32 v22, s0, v20
	;; [unrolled: 1-line block ×3, first 2 shown]
	s_mul_i32 s0, s22, 5
	v_subrev_nc_u32_e32 v119, s22, v20
	v_subrev_nc_u32_e32 v19, s1, v19
	;; [unrolled: 1-line block ×3, first 2 shown]
	v_add_nc_u32_e32 v25, 3, v19
	v_subrev_nc_u32_e32 v19, s1, v22
	v_subrev_nc_u32_e32 v22, s1, v23
	;; [unrolled: 1-line block ×3, first 2 shown]
	v_add_nc_u32_e32 v24, s21, v20
	s_lshl_b32 s1, s22, 1
	v_add_nc_u32_e32 v86, 3, v19
	v_add3_u32 v19, s17, s23, v0
	v_add_nc_u32_e32 v98, 4, v23
	v_add_nc_u32_e32 v23, s21, v21
	;; [unrolled: 1-line block ×3, first 2 shown]
	v_subrev_nc_u32_e32 v22, s0, v24
	v_add_nc_u32_e32 v13, v19, v13
	v_add_nc_u32_e32 v14, v19, v14
	;; [unrolled: 1-line block ×3, first 2 shown]
	v_subrev_nc_u32_e32 v19, s0, v23
	v_mov_b32_e32 v24, v120
	v_subrev_nc_u32_e32 v13, s1, v13
	v_subrev_nc_u32_e32 v14, s1, v14
	v_subrev_nc_u32_e32 v23, s1, v15
	v_add_nc_u32_e32 v15, 4, v22
	v_add_nc_u32_e32 v113, 4, v19
	;; [unrolled: 1-line block ×5, first 2 shown]
	v_mov_b32_e32 v22, v116
	v_mov_b32_e32 v23, v119
	;; [unrolled: 1-line block ×11, first 2 shown]
	s_mov_b32 s0, s30
.LBB4_9:                                ; =>This Inner Loop Header: Depth=1
	v_ashrrev_i32_e32 v62, 31, v61
	s_add_i32 s0, s0, 1
	s_cmp_ge_i32 s0, s19
	v_lshlrev_b64 v[26:27], 3, v[61:62]
	v_add_nc_u32_e32 v61, -6, v61
	v_add_co_u32 v26, vcc_lo, s6, v26
	v_add_co_ci_u32_e64 v27, null, s7, v27, vcc_lo
	global_load_dwordx2 v[96:97], v[26:27], off
	v_add_nc_u32_e32 v26, s18, v24
	v_add_nc_u32_e32 v24, s20, v24
	v_ashrrev_i32_e32 v27, 31, v26
	v_lshlrev_b64 v[26:27], 3, v[26:27]
	v_add_co_u32 v26, vcc_lo, s8, v26
	v_add_co_ci_u32_e64 v27, null, s9, v27, vcc_lo
	global_load_dwordx2 v[26:27], v[26:27], off
	s_waitcnt vmcnt(0)
	v_fma_f64 v[101:102], -v[96:97], v[26:27], v[101:102]
	v_add_nc_u32_e32 v26, s18, v23
	v_add_nc_u32_e32 v23, s20, v23
	v_ashrrev_i32_e32 v27, 31, v26
	v_lshlrev_b64 v[26:27], 3, v[26:27]
	v_add_co_u32 v26, vcc_lo, s8, v26
	v_add_co_ci_u32_e64 v27, null, s9, v27, vcc_lo
	global_load_dwordx2 v[26:27], v[26:27], off
	s_waitcnt vmcnt(0)
	v_fma_f64 v[87:88], -v[96:97], v[26:27], v[87:88]
	;; [unrolled: 9-line block ×12, first 2 shown]
	s_cbranch_scc0 .LBB4_9
; %bb.10:
	s_clause 0xf
	buffer_load_dword v13, off, s[44:47], 0 offset:480
	buffer_load_dword v14, off, s[44:47], 0 offset:484
	;; [unrolled: 1-line block ×16, first 2 shown]
	s_mov_b32 s0, 0x55555555
	s_mov_b32 s1, 0x3fb55555
	;; [unrolled: 1-line block ×4, first 2 shown]
	s_waitcnt vmcnt(14)
	v_mul_f64 v[13:14], v[13:14], v[45:46]
	s_waitcnt vmcnt(12)
	v_mul_f64 v[20:21], v[20:21], v[47:48]
	;; [unrolled: 2-line block ×3, first 2 shown]
	v_mul_f64 v[45:46], v[28:29], v[34:35]
	s_waitcnt vmcnt(8)
	v_mul_f64 v[26:27], v[41:42], v[47:48]
	s_waitcnt vmcnt(6)
	v_mul_f64 v[13:14], v[53:54], v[13:14]
	s_waitcnt vmcnt(4)
	v_mul_f64 v[20:21], v[55:56], v[20:21]
	v_mul_f64 v[22:23], v[53:54], v[22:23]
	;; [unrolled: 1-line block ×4, first 2 shown]
	s_waitcnt vmcnt(2)
	v_mul_f64 v[13:14], v[30:31], v[13:14]
	v_mul_f64 v[47:48], v[9:10], v[22:23]
	;; [unrolled: 1-line block ×4, first 2 shown]
	v_fma_f64 v[43:44], v[30:31], v[47:48], v[45:46]
	v_mul_f64 v[45:46], v[41:42], v[36:37]
	v_mul_f64 v[47:48], v[74:75], v[26:27]
	;; [unrolled: 1-line block ×4, first 2 shown]
	buffer_store_dword v43, off, s[44:47], 0 offset:480 ; 4-byte Folded Spill
	buffer_store_dword v44, off, s[44:47], 0 offset:484 ; 4-byte Folded Spill
	v_mul_f64 v[45:46], v[55:56], v[45:46]
	s_waitcnt vmcnt(0)
	v_mul_f64 v[26:27], v[32:33], v[26:27]
	v_mul_f64 v[45:46], v[80:81], v[45:46]
	v_fma_f64 v[43:44], v[32:33], v[47:48], v[45:46]
	v_add_f64 v[45:46], v[39:40], -v[71:72]
	buffer_store_dword v43, off, s[44:47], 0 offset:492 ; 4-byte Folded Spill
	buffer_store_dword v44, off, s[44:47], 0 offset:496 ; 4-byte Folded Spill
	v_mul_f64 v[43:44], v[32:33], v[20:21]
	s_clause 0x1
	buffer_load_dword v20, off, s[44:47], 0 offset:824
	buffer_load_dword v21, off, s[44:47], 0 offset:828
	buffer_store_dword v49, off, s[44:47], 0 offset:920 ; 4-byte Folded Spill
	buffer_store_dword v50, off, s[44:47], 0 offset:924 ; 4-byte Folded Spill
	s_waitcnt vmcnt(0)
	v_add_f64 v[22:23], v[20:21], -v[49:50]
	s_clause 0x3
	buffer_load_dword v49, off, s[44:47], 0 offset:816
	buffer_load_dword v50, off, s[44:47], 0 offset:820
	;; [unrolled: 1-line block ×4, first 2 shown]
	buffer_store_dword v71, off, s[44:47], 0 offset:912 ; 4-byte Folded Spill
	buffer_store_dword v72, off, s[44:47], 0 offset:916 ; 4-byte Folded Spill
	;; [unrolled: 1-line block ×4, first 2 shown]
	s_clause 0x3
	buffer_load_dword v30, off, s[44:47], 0 offset:64
	buffer_load_dword v31, off, s[44:47], 0 offset:68
	;; [unrolled: 1-line block ×4, first 2 shown]
	v_mul_f64 v[22:23], v[22:23], s[0:1]
	v_fma_f64 v[22:23], v[45:46], s[16:17], -v[22:23]
	s_waitcnt vmcnt(4)
	v_add_f64 v[45:46], v[49:50], -v[76:77]
	s_waitcnt vmcnt(0)
	v_add_f64 v[61:62], v[30:31], -v[32:33]
	s_clause 0x1
	buffer_load_dword v30, off, s[44:47], 0 offset:532
	buffer_load_dword v31, off, s[44:47], 0 offset:536
	v_mul_f64 v[45:46], v[45:46], s[0:1]
	v_fma_f64 v[45:46], v[61:62], s[16:17], -v[45:46]
	s_waitcnt vmcnt(0)
	v_mul_f64 v[22:23], v[30:31], v[22:23]
	s_clause 0x1
	buffer_load_dword v30, off, s[44:47], 0 offset:596
	buffer_load_dword v31, off, s[44:47], 0 offset:600
	s_waitcnt vmcnt(0)
	v_fma_f64 v[22:23], v[30:31], v[45:46], -v[22:23]
	buffer_store_dword v22, off, s[44:47], 0 offset:400 ; 4-byte Folded Spill
	buffer_store_dword v23, off, s[44:47], 0 offset:404 ; 4-byte Folded Spill
	s_clause 0x7
	buffer_load_dword v71, off, s[44:47], 0 offset:792
	buffer_load_dword v72, off, s[44:47], 0 offset:796
	;; [unrolled: 1-line block ×8, first 2 shown]
	s_waitcnt vmcnt(6)
	v_add_f64 v[22:23], v[51:52], -v[71:72]
	buffer_store_dword v51, off, s[44:47], 0 offset:928 ; 4-byte Folded Spill
	buffer_store_dword v52, off, s[44:47], 0 offset:932 ; 4-byte Folded Spill
	s_waitcnt vmcnt(2)
	v_add_f64 v[61:62], v[32:33], -v[30:31]
	s_clause 0x5
	buffer_load_dword v51, off, s[44:47], 0 offset:784
	buffer_load_dword v52, off, s[44:47], 0 offset:788
	;; [unrolled: 1-line block ×6, first 2 shown]
	v_mul_f64 v[22:23], v[22:23], s[0:1]
	v_fma_f64 v[22:23], v[61:62], s[16:17], -v[22:23]
	s_waitcnt vmcnt(4)
	v_add_f64 v[61:62], v[39:40], -v[51:52]
	s_waitcnt vmcnt(0)
	v_add_f64 v[96:97], v[32:33], -v[30:31]
	s_clause 0x1
	buffer_load_dword v30, off, s[44:47], 0 offset:564
	buffer_load_dword v31, off, s[44:47], 0 offset:568
	v_mul_f64 v[61:62], v[61:62], s[0:1]
	v_fma_f64 v[61:62], v[96:97], s[16:17], -v[61:62]
	s_waitcnt vmcnt(0)
	v_mul_f64 v[22:23], v[30:31], v[22:23]
	s_clause 0x1
	buffer_load_dword v30, off, s[44:47], 0 offset:588
	buffer_load_dword v31, off, s[44:47], 0 offset:592
	s_waitcnt vmcnt(0)
	v_fma_f64 v[22:23], v[30:31], v[61:62], -v[22:23]
	buffer_store_dword v22, off, s[44:47], 0 offset:532 ; 4-byte Folded Spill
	buffer_store_dword v23, off, s[44:47], 0 offset:536 ; 4-byte Folded Spill
	s_clause 0x3
	buffer_load_dword v22, off, s[44:47], 0 offset:112
	buffer_load_dword v23, off, s[44:47], 0 offset:116
	;; [unrolled: 1-line block ×4, first 2 shown]
	s_waitcnt vmcnt(0)
	v_add_f64 v[61:62], v[22:23], -v[30:31]
	s_clause 0x3
	buffer_load_dword v22, off, s[44:47], 0 offset:128
	buffer_load_dword v23, off, s[44:47], 0 offset:132
	;; [unrolled: 1-line block ×4, first 2 shown]
	v_mul_f64 v[61:62], v[61:62], s[0:1]
	s_waitcnt vmcnt(0)
	v_add_f64 v[96:97], v[22:23], -v[30:31]
	s_clause 0x3
	buffer_load_dword v22, off, s[44:47], 0 offset:144
	buffer_load_dword v23, off, s[44:47], 0 offset:148
	;; [unrolled: 1-line block ×4, first 2 shown]
	v_fma_f64 v[61:62], v[96:97], s[16:17], -v[61:62]
	s_waitcnt vmcnt(0)
	v_add_f64 v[96:97], v[22:23], -v[30:31]
	s_clause 0x3
	buffer_load_dword v22, off, s[44:47], 0 offset:160
	buffer_load_dword v23, off, s[44:47], 0 offset:164
	;; [unrolled: 1-line block ×4, first 2 shown]
	v_mul_f64 v[96:97], v[96:97], s[0:1]
	s_waitcnt vmcnt(0)
	v_add_f64 v[47:48], v[22:23], -v[30:31]
	s_clause 0x3
	buffer_load_dword v30, off, s[44:47], 0
	buffer_load_dword v31, off, s[44:47], 0 offset:4
	buffer_load_dword v22, off, s[44:47], 0 offset:40
	;; [unrolled: 1-line block ×3, first 2 shown]
	v_fma_f64 v[47:48], v[47:48], s[16:17], -v[96:97]
	s_waitcnt vmcnt(0)
	v_mul_f64 v[96:97], v[30:31], v[22:23]
	v_mul_f64 v[96:97], v[30:31], v[96:97]
	s_clause 0x3
	buffer_load_dword v30, off, s[44:47], 0 offset:24
	buffer_load_dword v31, off, s[44:47], 0 offset:28
	buffer_load_dword v22, off, s[44:47], 0 offset:56
	buffer_load_dword v23, off, s[44:47], 0 offset:60
	v_mul_f64 v[47:48], v[96:97], v[47:48]
	s_waitcnt vmcnt(0)
	v_mul_f64 v[96:97], v[30:31], v[22:23]
	v_mul_f64 v[96:97], v[30:31], v[96:97]
	v_fma_f64 v[22:23], v[96:97], v[61:62], -v[47:48]
	buffer_store_dword v22, off, s[44:47], 0 offset:564 ; 4-byte Folded Spill
	buffer_store_dword v23, off, s[44:47], 0 offset:568 ; 4-byte Folded Spill
	s_clause 0x3
	buffer_load_dword v22, off, s[44:47], 0 offset:184
	buffer_load_dword v23, off, s[44:47], 0 offset:188
	;; [unrolled: 1-line block ×4, first 2 shown]
	s_waitcnt vmcnt(0)
	v_add_f64 v[47:48], v[30:31], -v[22:23]
	s_clause 0x3
	buffer_load_dword v22, off, s[44:47], 0 offset:200
	buffer_load_dword v23, off, s[44:47], 0 offset:204
	buffer_load_dword v30, off, s[44:47], 0 offset:192
	buffer_load_dword v31, off, s[44:47], 0 offset:196
	v_mul_f64 v[47:48], v[47:48], s[0:1]
	s_waitcnt vmcnt(0)
	v_add_f64 v[61:62], v[30:31], -v[22:23]
	s_clause 0x3
	buffer_load_dword v96, off, s[44:47], 0 offset:808
	buffer_load_dword v97, off, s[44:47], 0 offset:812
	;; [unrolled: 1-line block ×4, first 2 shown]
	v_fma_f64 v[47:48], v[61:62], s[16:17], -v[47:48]
	s_waitcnt vmcnt(0)
	v_add_f64 v[61:62], v[96:97], -v[22:23]
	s_clause 0x3
	buffer_load_dword v22, off, s[44:47], 0 offset:224
	buffer_load_dword v23, off, s[44:47], 0 offset:228
	;; [unrolled: 1-line block ×4, first 2 shown]
	v_mul_f64 v[61:62], v[61:62], s[0:1]
	s_waitcnt vmcnt(0)
	v_add_f64 v[45:46], v[30:31], -v[22:23]
	s_clause 0x3
	buffer_load_dword v30, off, s[44:47], 0 offset:8
	buffer_load_dword v31, off, s[44:47], 0 offset:12
	;; [unrolled: 1-line block ×4, first 2 shown]
	v_fma_f64 v[45:46], v[45:46], s[16:17], -v[61:62]
	s_waitcnt vmcnt(0)
	v_mul_f64 v[61:62], v[30:31], v[22:23]
	v_mul_f64 v[61:62], v[30:31], v[61:62]
	s_clause 0x3
	buffer_load_dword v22, off, s[44:47], 0 offset:16
	buffer_load_dword v23, off, s[44:47], 0 offset:20
	;; [unrolled: 1-line block ×4, first 2 shown]
	v_mul_f64 v[45:46], v[61:62], v[45:46]
	s_waitcnt vmcnt(0)
	v_mul_f64 v[61:62], v[22:23], v[30:31]
	v_mul_f64 v[61:62], v[22:23], v[61:62]
	v_fma_f64 v[22:23], v[61:62], v[47:48], -v[45:46]
	buffer_store_dword v22, off, s[44:47], 0 offset:588 ; 4-byte Folded Spill
	buffer_store_dword v23, off, s[44:47], 0 offset:592 ; 4-byte Folded Spill
	s_clause 0x5
	buffer_load_dword v22, off, s[44:47], 0 offset:320
	buffer_load_dword v23, off, s[44:47], 0 offset:324
	;; [unrolled: 1-line block ×6, first 2 shown]
	s_waitcnt vmcnt(2)
	v_mul_f64 v[45:46], v[22:23], v[30:31]
	s_waitcnt vmcnt(0)
	v_mul_f64 v[41:42], v[41:42], v[32:33]
	v_mul_f64 v[45:46], v[53:54], v[45:46]
	;; [unrolled: 1-line block ×4, first 2 shown]
	v_fma_f64 v[11:12], v[111:112], v[13:14], v[11:12]
	v_mul_f64 v[13:14], v[22:23], v[34:35]
	v_mul_f64 v[13:14], v[53:54], v[13:14]
	v_fma_f64 v[9:10], v[9:10], v[13:14], v[11:12]
	buffer_store_dword v9, off, s[44:47], 0 offset:596 ; 4-byte Folded Spill
	buffer_store_dword v10, off, s[44:47], 0 offset:600 ; 4-byte Folded Spill
	s_clause 0x1
	buffer_load_dword v60, off, s[44:47], 0 offset:336
	buffer_load_dword v61, off, s[44:47], 0 offset:340
	v_mul_f64 v[13:14], v[28:29], v[30:31]
	v_mov_b32_e32 v31, v21
	v_mov_b32_e32 v30, v20
	v_mul_f64 v[13:14], v[53:54], v[13:14]
	s_waitcnt vmcnt(0)
	v_mul_f64 v[11:12], v[60:61], v[32:33]
	v_mul_f64 v[37:38], v[60:61], v[36:37]
	;; [unrolled: 1-line block ×6, first 2 shown]
	v_fma_f64 v[11:12], v[80:81], v[43:44], v[11:12]
	v_fma_f64 v[9:10], v[74:75], v[20:21], v[11:12]
	buffer_store_dword v9, off, s[44:47], 0 offset:392 ; 4-byte Folded Spill
	buffer_store_dword v10, off, s[44:47], 0 offset:396 ; 4-byte Folded Spill
	s_clause 0x1
	buffer_load_dword v73, off, s[44:47], 0 offset:304
	buffer_load_dword v74, off, s[44:47], 0 offset:308
	s_waitcnt vmcnt(0)
	v_mul_f64 v[20:21], v[73:74], v[99:100]
	v_fma_f64 v[9:10], v[111:112], v[13:14], v[20:21]
	v_mul_f64 v[13:14], v[55:56], v[41:42]
	v_mul_f64 v[20:21], v[73:74], v[26:27]
	buffer_store_dword v9, off, s[44:47], 0 offset:440 ; 4-byte Folded Spill
	buffer_store_dword v10, off, s[44:47], 0 offset:444 ; 4-byte Folded Spill
	v_fma_f64 v[9:10], v[80:81], v[13:14], v[20:21]
	buffer_store_dword v9, off, s[44:47], 0 offset:880 ; 4-byte Folded Spill
	buffer_store_dword v10, off, s[44:47], 0 offset:884 ; 4-byte Folded Spill
	s_clause 0xd
	buffer_load_dword v9, off, s[44:47], 0 offset:456
	buffer_load_dword v10, off, s[44:47], 0 offset:460
	;; [unrolled: 1-line block ×14, first 2 shown]
	s_waitcnt vmcnt(8)
	v_mul_f64 v[13:14], v[9:10], v[43:44]
	s_clause 0x5
	buffer_load_dword v9, off, s[44:47], 0 offset:272
	buffer_load_dword v10, off, s[44:47], 0 offset:276
	;; [unrolled: 1-line block ×6, first 2 shown]
	s_waitcnt vmcnt(8)
	v_mul_f64 v[20:21], v[28:29], v[47:48]
	s_waitcnt vmcnt(6)
	v_mul_f64 v[13:14], v[11:12], v[13:14]
	v_mul_f64 v[20:21], v[11:12], v[20:21]
	;; [unrolled: 1-line block ×4, first 2 shown]
	s_waitcnt vmcnt(4)
	v_mul_f64 v[13:14], v[9:10], v[13:14]
	v_fma_f64 v[13:14], v[84:85], v[13:14], v[20:21]
	s_waitcnt vmcnt(0)
	v_mul_f64 v[20:21], v[28:29], v[80:81]
	v_mul_f64 v[20:21], v[11:12], v[20:21]
	v_fma_f64 v[13:14], v[82:83], v[20:21], v[13:14]
	buffer_store_dword v13, off, s[44:47], 0 offset:456 ; 4-byte Folded Spill
	buffer_store_dword v14, off, s[44:47], 0 offset:460 ; 4-byte Folded Spill
	s_clause 0x1
	buffer_load_dword v33, off, s[44:47], 0 offset:448
	buffer_load_dword v34, off, s[44:47], 0 offset:452
	s_waitcnt vmcnt(0)
	v_mul_f64 v[13:14], v[33:34], v[43:44]
	v_mul_f64 v[26:27], v[33:34], v[47:48]
	;; [unrolled: 1-line block ×8, first 2 shown]
	v_fma_f64 v[20:21], v[84:85], v[26:27], v[20:21]
	buffer_store_dword v20, off, s[44:47], 0 offset:896 ; 4-byte Folded Spill
	buffer_store_dword v21, off, s[44:47], 0 offset:900 ; 4-byte Folded Spill
	v_mul_f64 v[20:21], v[33:34], v[80:81]
	v_mul_f64 v[20:21], v[11:12], v[20:21]
	;; [unrolled: 1-line block ×3, first 2 shown]
	v_fma_f64 v[9:10], v[9:10], v[13:14], v[20:21]
	buffer_store_dword v9, off, s[44:47], 0 offset:272 ; 4-byte Folded Spill
	buffer_store_dword v10, off, s[44:47], 0 offset:276 ; 4-byte Folded Spill
	s_clause 0x1
	buffer_load_dword v9, off, s[44:47], 0 offset:928
	buffer_load_dword v10, off, s[44:47], 0 offset:932
	v_add_f64 v[13:14], v[49:50], -v[30:31]
	v_mul_f64 v[20:21], v[28:29], v[11:12]
	v_mul_f64 v[13:14], v[13:14], s[0:1]
	;; [unrolled: 1-line block ×3, first 2 shown]
	s_waitcnt vmcnt(0)
	v_add_f64 v[35:36], v[39:40], -v[9:10]
	s_clause 0x1
	buffer_load_dword v9, off, s[44:47], 0 offset:920
	buffer_load_dword v10, off, s[44:47], 0 offset:924
	v_fma_f64 v[13:14], v[35:36], s[16:17], -v[13:14]
	v_add_f64 v[35:36], v[51:52], -v[71:72]
	s_waitcnt vmcnt(0)
	v_add_f64 v[43:44], v[76:77], -v[9:10]
	v_mul_f64 v[43:44], v[43:44], s[0:1]
	v_fma_f64 v[35:36], v[35:36], s[16:17], -v[43:44]
	v_mul_f64 v[43:44], v[22:23], v[53:54]
	v_mul_f64 v[43:44], v[53:54], v[43:44]
	;; [unrolled: 1-line block ×3, first 2 shown]
	v_fma_f64 v[9:10], v[20:21], v[13:14], -v[35:36]
	buffer_store_dword v9, off, s[44:47], 0 offset:320 ; 4-byte Folded Spill
	buffer_store_dword v10, off, s[44:47], 0 offset:324 ; 4-byte Folded Spill
	s_clause 0x5
	buffer_load_dword v13, off, s[44:47], 0 offset:376
	buffer_load_dword v14, off, s[44:47], 0 offset:380
	;; [unrolled: 1-line block ×6, first 2 shown]
	s_waitcnt vmcnt(4)
	v_mul_f64 v[20:21], v[13:14], v[45:46]
	s_waitcnt vmcnt(2)
	v_mul_f64 v[33:34], v[9:10], v[45:46]
	s_waitcnt vmcnt(0)
	v_mul_f64 v[35:36], v[11:12], v[41:42]
	v_mul_f64 v[45:46], v[9:10], v[41:42]
	v_mul_f64 v[47:48], v[9:10], v[78:79]
	s_clause 0x3
	buffer_load_dword v9, off, s[44:47], 0 offset:352
	buffer_load_dword v10, off, s[44:47], 0 offset:356
	;; [unrolled: 1-line block ×4, first 2 shown]
	v_mul_f64 v[29:30], v[13:14], v[78:79]
	s_waitcnt vmcnt(0)
	v_mov_b32_e32 v9, v11
	v_mov_b32_e32 v10, v12
	v_mul_f64 v[11:12], v[9:10], v[29:30]
	v_mul_f64 v[71:72], v[13:14], v[9:10]
	buffer_store_dword v11, off, s[44:47], 0 offset:368 ; 4-byte Folded Spill
	buffer_store_dword v12, off, s[44:47], 0 offset:372 ; 4-byte Folded Spill
	v_mul_f64 v[43:44], v[9:10], v[35:36]
	v_mul_f64 v[35:36], v[9:10], v[20:21]
	;; [unrolled: 1-line block ×6, first 2 shown]
	s_clause 0x3
	buffer_load_dword v9, off, s[44:47], 0 offset:912
	buffer_load_dword v10, off, s[44:47], 0 offset:916
	;; [unrolled: 1-line block ×4, first 2 shown]
	v_mul_f64 v[45:46], v[60:61], v[55:56]
	v_mul_f64 v[43:44], v[3:4], v[43:44]
	;; [unrolled: 1-line block ×4, first 2 shown]
	s_waitcnt vmcnt(0)
	v_add_f64 v[47:48], v[11:12], -v[9:10]
	s_clause 0x3
	buffer_load_dword v9, off, s[44:47], 0 offset:904
	buffer_load_dword v10, off, s[44:47], 0 offset:908
	;; [unrolled: 1-line block ×4, first 2 shown]
	v_mul_f64 v[47:48], v[47:48], s[0:1]
	s_waitcnt vmcnt(0)
	v_add_f64 v[71:72], v[11:12], -v[9:10]
	s_clause 0x3
	buffer_load_dword v9, off, s[44:47], 0 offset:96
	buffer_load_dword v10, off, s[44:47], 0 offset:100
	;; [unrolled: 1-line block ×4, first 2 shown]
	v_mul_f64 v[71:72], v[71:72], s[0:1]
	s_waitcnt vmcnt(0)
	v_add_f64 v[78:79], v[11:12], -v[9:10]
	s_clause 0x3
	buffer_load_dword v9, off, s[44:47], 0 offset:104
	buffer_load_dword v10, off, s[44:47], 0 offset:108
	;; [unrolled: 1-line block ×4, first 2 shown]
	v_fma_f64 v[71:72], v[78:79], s[16:17], -v[71:72]
	s_waitcnt vmcnt(0)
	v_add_f64 v[80:81], v[11:12], -v[9:10]
	s_clause 0x3
	buffer_load_dword v9, off, s[44:47], 0 offset:120
	buffer_load_dword v10, off, s[44:47], 0 offset:124
	;; [unrolled: 1-line block ×4, first 2 shown]
	v_fma_f64 v[47:48], v[80:81], s[16:17], -v[47:48]
	v_mul_f64 v[45:46], v[45:46], v[47:48]
	v_fma_f64 v[31:32], v[20:21], v[71:72], -v[45:46]
	s_waitcnt vmcnt(0)
	v_add_f64 v[20:21], v[9:10], -v[11:12]
	s_clause 0x3
	buffer_load_dword v9, off, s[44:47], 0 offset:112
	buffer_load_dword v10, off, s[44:47], 0 offset:116
	buffer_load_dword v11, off, s[44:47], 0 offset:144
	buffer_load_dword v12, off, s[44:47], 0 offset:148
	v_mul_f64 v[20:21], v[20:21], s[0:1]
	s_waitcnt vmcnt(0)
	v_add_f64 v[45:46], v[9:10], -v[11:12]
	s_clause 0x1
	buffer_load_dword v9, off, s[44:47], 0 offset:176
	buffer_load_dword v10, off, s[44:47], 0 offset:180
	v_mul_f64 v[45:46], v[45:46], s[0:1]
	s_waitcnt vmcnt(0)
	v_add_f64 v[47:48], v[9:10], -v[96:97]
	s_clause 0x3
	buffer_load_dword v9, off, s[44:47], 0 offset:184
	buffer_load_dword v10, off, s[44:47], 0 offset:188
	;; [unrolled: 1-line block ×4, first 2 shown]
	v_fma_f64 v[45:46], v[47:48], s[16:17], -v[45:46]
	s_waitcnt vmcnt(0)
	v_add_f64 v[71:72], v[9:10], -v[11:12]
	s_clause 0x1
	buffer_load_dword v9, off, s[44:47], 0 offset:540
	buffer_load_dword v10, off, s[44:47], 0 offset:544
	v_fma_f64 v[20:21], v[71:72], s[16:17], -v[20:21]
	s_waitcnt vmcnt(0)
	v_mul_f64 v[20:21], v[9:10], v[20:21]
	s_clause 0x1
	buffer_load_dword v9, off, s[44:47], 0 offset:548
	buffer_load_dword v10, off, s[44:47], 0 offset:552
	s_waitcnt vmcnt(0)
	v_fma_f64 v[9:10], v[9:10], v[45:46], -v[20:21]
	buffer_store_dword v9, off, s[44:47], 0 offset:64 ; 4-byte Folded Spill
	buffer_store_dword v10, off, s[44:47], 0 offset:68 ; 4-byte Folded Spill
	s_clause 0x3
	buffer_load_dword v9, off, s[44:47], 0 offset:136
	buffer_load_dword v10, off, s[44:47], 0 offset:140
	;; [unrolled: 1-line block ×4, first 2 shown]
	s_waitcnt vmcnt(0)
	v_add_f64 v[45:46], v[9:10], -v[11:12]
	s_clause 0x3
	buffer_load_dword v9, off, s[44:47], 0 offset:128
	buffer_load_dword v10, off, s[44:47], 0 offset:132
	;; [unrolled: 1-line block ×4, first 2 shown]
	v_mul_f64 v[45:46], v[45:46], s[0:1]
	s_waitcnt vmcnt(0)
	v_add_f64 v[47:48], v[9:10], -v[11:12]
	s_clause 0x3
	buffer_load_dword v9, off, s[44:47], 0 offset:192
	buffer_load_dword v10, off, s[44:47], 0 offset:196
	buffer_load_dword v11, off, s[44:47], 0 offset:216
	buffer_load_dword v12, off, s[44:47], 0 offset:220
	v_mul_f64 v[47:48], v[47:48], s[0:1]
	s_waitcnt vmcnt(0)
	v_add_f64 v[71:72], v[9:10], -v[11:12]
	s_clause 0x3
	buffer_load_dword v9, off, s[44:47], 0 offset:200
	buffer_load_dword v10, off, s[44:47], 0 offset:204
	;; [unrolled: 1-line block ×4, first 2 shown]
	v_fma_f64 v[47:48], v[71:72], s[16:17], -v[47:48]
	s_waitcnt vmcnt(0)
	v_add_f64 v[78:79], v[9:10], -v[11:12]
	s_clause 0x1
	buffer_load_dword v9, off, s[44:47], 0 offset:516
	buffer_load_dword v10, off, s[44:47], 0 offset:520
	v_fma_f64 v[45:46], v[78:79], s[16:17], -v[45:46]
	s_waitcnt vmcnt(0)
	v_mul_f64 v[45:46], v[9:10], v[45:46]
	s_clause 0x1
	buffer_load_dword v9, off, s[44:47], 0 offset:524
	buffer_load_dword v10, off, s[44:47], 0 offset:528
	s_waitcnt vmcnt(0)
	v_fma_f64 v[9:10], v[9:10], v[47:48], -v[45:46]
	buffer_store_dword v9, off, s[44:47], 0 offset:72 ; 4-byte Folded Spill
	buffer_store_dword v10, off, s[44:47], 0 offset:76 ; 4-byte Folded Spill
	s_clause 0x9
	buffer_load_dword v13, off, s[44:47], 0 offset:740
	buffer_load_dword v14, off, s[44:47], 0 offset:744
	;; [unrolled: 1-line block ×10, first 2 shown]
	s_waitcnt vmcnt(8)
	v_mul_f64 v[45:46], v[5:6], v[13:14]
	s_waitcnt vmcnt(6)
	v_mul_f64 v[47:48], v[1:2], v[11:12]
	;; [unrolled: 2-line block ×3, first 2 shown]
	s_waitcnt vmcnt(0)
	v_fma_f64 v[78:79], v[49:50], 2.0, v[9:10]
	v_add_f64 v[80:81], v[49:50], v[9:10]
	v_mul_f64 v[45:46], v[13:14], v[45:46]
	v_mul_f64 v[47:48], v[11:12], v[47:48]
	;; [unrolled: 1-line block ×4, first 2 shown]
	v_fma_f64 v[71:72], v[1:2], v[47:48], v[71:72]
	v_fma_f64 v[47:48], v[1:2], v[47:48], v[45:46]
	;; [unrolled: 1-line block ×3, first 2 shown]
	v_mul_f64 v[71:72], v[49:50], v[71:72]
	v_mul_f64 v[47:48], v[49:50], v[47:48]
	v_mul_f64 v[45:46], v[49:50], v[45:46]
	s_clause 0x1
	buffer_load_dword v49, off, s[44:47], 0 offset:692
	buffer_load_dword v50, off, s[44:47], 0 offset:696
	v_fma_f64 v[47:48], v[20:21], v[111:112], v[47:48]
	v_mul_f64 v[111:112], v[78:79], v[13:14]
	v_mul_f64 v[78:79], v[78:79], v[11:12]
	;; [unrolled: 1-line block ×6, first 2 shown]
	v_fma_f64 v[71:72], v[5:6], v[111:112], v[71:72]
	v_fma_f64 v[45:46], v[1:2], v[78:79], v[45:46]
	s_waitcnt vmcnt(0)
	v_mul_f64 v[78:79], v[49:50], v[80:81]
	v_mul_f64 v[71:72], v[49:50], v[71:72]
	;; [unrolled: 1-line block ×7, first 2 shown]
	s_clause 0x7
	buffer_load_dword v13, off, s[44:47], 0 offset:768
	buffer_load_dword v14, off, s[44:47], 0 offset:772
	;; [unrolled: 1-line block ×8, first 2 shown]
	v_mul_f64 v[55:56], v[78:79], v[20:21]
	v_mul_f64 v[80:81], v[80:81], v[20:21]
	;; [unrolled: 1-line block ×3, first 2 shown]
	s_waitcnt vmcnt(6)
	v_mul_f64 v[71:72], v[13:14], v[71:72]
	v_mul_f64 v[45:46], v[13:14], v[45:46]
	;; [unrolled: 1-line block ×3, first 2 shown]
	s_waitcnt vmcnt(0)
	v_mul_f64 v[55:56], v[99:100], v[55:56]
	v_mul_f64 v[71:72], v[11:12], v[71:72]
	;; [unrolled: 1-line block ×4, first 2 shown]
	v_fma_f64 v[71:72], v[111:112], v[9:10], v[71:72]
	v_fma_f64 v[45:46], v[111:112], v[11:12], v[45:46]
	v_fma_f64 v[80:81], v[9:10], v[78:79], v[80:81]
	s_clause 0x1
	buffer_load_dword v9, off, s[44:47], 0 offset:684
	buffer_load_dword v10, off, s[44:47], 0 offset:688
	s_waitcnt vmcnt(0)
	v_fma_f64 v[71:72], v[55:56], v[9:10], v[71:72]
	v_fma_f64 v[26:27], v[78:79], v[9:10], v[45:46]
	;; [unrolled: 1-line block ×3, first 2 shown]
	buffer_store_dword v9, off, s[44:47], 0 offset:80 ; 4-byte Folded Spill
	buffer_store_dword v10, off, s[44:47], 0 offset:84 ; 4-byte Folded Spill
	s_clause 0x1
	buffer_load_dword v9, off, s[44:47], 0 offset:644
	buffer_load_dword v10, off, s[44:47], 0 offset:648
	s_waitcnt vmcnt(1)
	v_add_co_u32 v45, vcc_lo, s14, v9
	s_waitcnt vmcnt(0)
	v_add_co_ci_u32_e64 v46, null, s15, v10, vcc_lo
	s_clause 0x1
	buffer_load_dword v9, off, s[44:47], 0 offset:628
	buffer_load_dword v10, off, s[44:47], 0 offset:632
	s_waitcnt vmcnt(1)
	v_add_co_u32 v47, vcc_lo, s14, v9
	buffer_load_dword v9, off, s[44:47], 0 offset:756 ; 4-byte Folded Reload
	s_waitcnt vmcnt(1)
	v_add_co_ci_u32_e64 v48, null, s15, v10, vcc_lo
	s_waitcnt vmcnt(0)
	v_add_nc_u32_e32 v78, s24, v9
	buffer_load_dword v9, off, s[44:47], 0 offset:488 ; 4-byte Folded Reload
	v_ashrrev_i32_e32 v79, 31, v78
	v_lshlrev_b64 v[78:79], 3, v[78:79]
	v_add_co_u32 v78, vcc_lo, s14, v78
	v_add_co_ci_u32_e64 v79, null, s15, v79, vcc_lo
	s_waitcnt vmcnt(0)
	v_add_nc_u32_e32 v80, s24, v9
	buffer_load_dword v9, off, s[44:47], 0 offset:680 ; 4-byte Folded Reload
	v_ashrrev_i32_e32 v81, 31, v80
	v_lshlrev_b64 v[80:81], 3, v[80:81]
	v_add_co_u32 v80, vcc_lo, s14, v80
	v_add_co_ci_u32_e64 v81, null, s15, v81, vcc_lo
	s_waitcnt vmcnt(0)
	v_add_nc_u32_e32 v111, s24, v9
	s_clause 0x3
	buffer_load_dword v9, off, s[44:47], 0 offset:660
	buffer_load_dword v10, off, s[44:47], 0 offset:664
	;; [unrolled: 1-line block ×4, first 2 shown]
	v_ashrrev_i32_e32 v112, 31, v111
	v_lshlrev_b64 v[111:112], 3, v[111:112]
	v_add_co_u32 v111, vcc_lo, s14, v111
	v_add_co_ci_u32_e64 v112, null, s15, v112, vcc_lo
	s_clause 0x4
	global_load_dwordx2 v[45:46], v[45:46], off
	global_load_dwordx2 v[55:56], v[78:79], off
	;; [unrolled: 1-line block ×5, first 2 shown]
	s_waitcnt vmcnt(8)
	v_add_co_u32 v9, vcc_lo, s14, v9
	s_waitcnt vmcnt(7)
	v_add_co_ci_u32_e64 v10, null, s15, v10, vcc_lo
	s_waitcnt vmcnt(6)
	v_add_co_u32 v76, vcc_lo, s14, v11
	s_waitcnt vmcnt(5)
	v_add_co_ci_u32_e64 v77, null, s15, v12, vcc_lo
	s_clause 0x9
	buffer_load_dword v11, off, s[44:47], 0 offset:580
	buffer_load_dword v12, off, s[44:47], 0 offset:584
	;; [unrolled: 1-line block ×4, first 2 shown]
	buffer_load_dword v84, off, s[44:47], 0
	buffer_load_dword v85, off, s[44:47], 0 offset:4
	buffer_load_dword v37, off, s[44:47], 0 offset:256
	buffer_load_dword v38, off, s[44:47], 0 offset:260
	buffer_load_dword v39, off, s[44:47], 0 offset:264
	buffer_load_dword v40, off, s[44:47], 0 offset:268
	s_waitcnt vmcnt(8)
	v_mul_f64 v[78:79], v[11:12], v[45:46]
	s_waitcnt vmcnt(6)
	v_mul_f64 v[45:46], v[13:14], v[45:46]
	v_mul_f64 v[80:81], v[13:14], v[55:56]
	s_waitcnt vmcnt(4)
	v_mul_f64 v[11:12], v[84:85], v[45:46]
	v_mul_f64 v[80:81], v[84:85], v[80:81]
	;; [unrolled: 1-line block ×5, first 2 shown]
	s_waitcnt vmcnt(2)
	v_fma_f64 v[20:21], v[37:38], v[80:81], v[45:46]
	buffer_store_dword v20, off, s[44:47], 0 offset:88 ; 4-byte Folded Spill
	buffer_store_dword v21, off, s[44:47], 0 offset:92 ; 4-byte Folded Spill
	s_clause 0x1
	global_load_dwordx2 v[9:10], v[9:10], off
	global_load_dwordx2 v[76:77], v[76:77], off
	s_clause 0x3
	buffer_load_dword v22, off, s[44:47], 0 offset:572
	buffer_load_dword v23, off, s[44:47], 0 offset:576
	;; [unrolled: 1-line block ×4, first 2 shown]
	s_waitcnt vmcnt(2)
	v_mul_f64 v[80:81], v[22:23], v[9:10]
	s_clause 0x1
	buffer_load_dword v22, off, s[44:47], 0 offset:8
	buffer_load_dword v23, off, s[44:47], 0 offset:12
	s_waitcnt vmcnt(2)
	v_mul_f64 v[9:10], v[45:46], v[9:10]
	v_mul_f64 v[96:97], v[45:46], v[111:112]
	s_waitcnt vmcnt(0)
	v_mul_f64 v[96:97], v[22:23], v[96:97]
	v_mul_f64 v[9:10], v[22:23], v[9:10]
	;; [unrolled: 1-line block ×5, first 2 shown]
	v_fma_f64 v[20:21], v[39:40], v[60:61], v[96:97]
	buffer_store_dword v20, off, s[44:47], 0 offset:96 ; 4-byte Folded Spill
	buffer_store_dword v21, off, s[44:47], 0 offset:100 ; 4-byte Folded Spill
	v_mul_f64 v[96:97], v[39:40], v[9:10]
	s_clause 0x1
	buffer_load_dword v9, off, s[44:47], 0 offset:668
	buffer_load_dword v10, off, s[44:47], 0 offset:672
	v_mul_f64 v[60:61], v[84:85], v[78:79]
	v_mul_f64 v[78:79], v[22:23], v[80:81]
	;; [unrolled: 1-line block ×7, first 2 shown]
	s_waitcnt vmcnt(1)
	v_add_co_u32 v80, vcc_lo, s14, v9
	s_waitcnt vmcnt(0)
	v_add_co_ci_u32_e64 v81, null, s15, v10, vcc_lo
	s_clause 0x2
	buffer_load_dword v9, off, s[44:47], 0 offset:620
	buffer_load_dword v10, off, s[44:47], 0 offset:624
	;; [unrolled: 1-line block ×3, first 2 shown]
	s_waitcnt vmcnt(2)
	v_add_co_u32 v9, vcc_lo, s14, v9
	s_waitcnt vmcnt(1)
	v_add_co_ci_u32_e64 v10, null, s15, v10, vcc_lo
	s_clause 0x1
	global_load_dwordx2 v[80:81], v[80:81], off
	global_load_dwordx2 v[9:10], v[9:10], off
	s_clause 0x7
	buffer_load_dword v37, off, s[44:47], 0 offset:556
	buffer_load_dword v38, off, s[44:47], 0 offset:560
	;; [unrolled: 1-line block ×8, first 2 shown]
	s_waitcnt vmcnt(10)
	v_add_nc_u32_e32 v41, s24, v16
	v_ashrrev_i32_e32 v42, 31, v41
	v_lshlrev_b64 v[41:42], 3, v[41:42]
	v_add_co_u32 v41, vcc_lo, s14, v41
	v_add_co_ci_u32_e64 v42, null, s15, v42, vcc_lo
	s_waitcnt vmcnt(6)
	v_mul_f64 v[51:52], v[37:38], v[80:81]
	s_waitcnt vmcnt(4)
	v_mul_f64 v[80:81], v[49:50], v[80:81]
	v_mul_f64 v[37:38], v[49:50], v[9:10]
	s_waitcnt vmcnt(2)
	v_mul_f64 v[51:52], v[11:12], v[51:52]
	v_mul_f64 v[80:81], v[11:12], v[80:81]
	;; [unrolled: 1-line block ×6, first 2 shown]
	s_waitcnt vmcnt(0)
	v_mul_f64 v[51:52], v[53:54], v[51:52]
	v_mul_f64 v[39:40], v[53:54], v[39:40]
	;; [unrolled: 1-line block ×3, first 2 shown]
	v_fma_f64 v[37:38], v[94:95], v[37:38], v[39:40]
	global_load_dwordx2 v[39:40], v[41:42], off
	s_waitcnt vmcnt(0)
	v_mul_f64 v[41:42], v[49:50], v[39:40]
	v_mul_f64 v[41:42], v[11:12], v[41:42]
	;; [unrolled: 1-line block ×3, first 2 shown]
	v_mov_b32_e32 v95, v12
	v_mov_b32_e32 v94, v11
	v_fma_f64 v[41:42], v[53:54], v[80:81], v[41:42]
	s_clause 0x1
	buffer_load_dword v80, off, s[44:47], 0 offset:56
	buffer_load_dword v81, off, s[44:47], 0 offset:60
	v_mov_b32_e32 v53, v99
	v_mov_b32_e32 v54, v100
	v_mul_f64 v[51:52], v[53:54], v[51:52]
	v_mul_f64 v[60:61], v[53:54], v[60:61]
	s_waitcnt vmcnt(0)
	v_mul_f64 v[9:10], v[80:81], v[9:10]
	v_mul_f64 v[39:40], v[80:81], v[39:40]
	;; [unrolled: 1-line block ×5, first 2 shown]
	v_fma_f64 v[9:10], v[92:93], v[9:10], v[51:52]
	s_clause 0x3
	buffer_load_dword v92, off, s[44:47], 0 offset:40
	buffer_load_dword v93, off, s[44:47], 0 offset:44
	;; [unrolled: 1-line block ×4, first 2 shown]
	v_mul_f64 v[39:40], v[121:122], v[39:40]
	v_fma_f64 v[9:10], v[53:54], v[39:40], v[9:10]
	s_waitcnt vmcnt(2)
	v_mul_f64 v[51:52], v[92:93], v[47:48]
	v_mul_f64 v[47:48], v[13:14], v[47:48]
	s_clause 0x1
	buffer_load_dword v13, off, s[44:47], 0 offset:368
	buffer_load_dword v14, off, s[44:47], 0 offset:372
	v_mul_f64 v[51:52], v[84:85], v[51:52]
	v_mul_f64 v[47:48], v[84:85], v[47:48]
	v_fma_f64 v[51:52], v[101:102], v[51:52], v[60:61]
	v_fma_f64 v[11:12], v[87:88], v[47:48], v[11:12]
	s_waitcnt vmcnt(2)
	v_mul_f64 v[47:48], v[99:100], v[76:77]
	v_mul_f64 v[60:61], v[53:54], v[78:79]
	;; [unrolled: 1-line block ×3, first 2 shown]
	v_add_f64 v[11:12], v[37:38], -v[11:12]
	v_mul_f64 v[47:48], v[22:23], v[47:48]
	v_mul_f64 v[76:77], v[22:23], v[76:77]
	v_mul_f64 v[11:12], v[11:12], s[0:1]
	v_fma_f64 v[47:48], v[109:110], v[47:48], v[60:61]
	v_mul_f64 v[60:61], v[17:18], v[35:36]
	v_mul_f64 v[16:17], v[17:18], v[29:30]
	;; [unrolled: 1-line block ×3, first 2 shown]
	v_subrev_nc_u32_e32 v18, s22, v91
	v_mul_f64 v[60:61], v[5:6], v[60:61]
	v_mul_f64 v[16:17], v[3:4], v[16:17]
	v_fma_f64 v[3:4], v[3:4], v[28:29], v[33:34]
	v_fma_f64 v[43:44], v[117:118], v[43:44], v[60:61]
	v_mul_f64 v[16:17], v[73:74], v[16:17]
	v_fma_f64 v[16:17], v[117:118], v[89:90], v[16:17]
	v_mov_b32_e32 v90, v74
	v_mov_b32_e32 v89, v73
	s_waitcnt vmcnt(0)
	v_fma_f64 v[35:36], v[103:104], v[13:14], v[43:44]
	s_clause 0x1
	buffer_load_dword v13, off, s[44:47], 0 offset:652
	buffer_load_dword v14, off, s[44:47], 0 offset:656
	s_waitcnt vmcnt(1)
	v_add_co_u32 v28, vcc_lo, s14, v13
	s_waitcnt vmcnt(0)
	v_add_co_ci_u32_e64 v29, null, s15, v14, vcc_lo
	s_clause 0x1
	buffer_load_dword v13, off, s[44:47], 0 offset:604
	buffer_load_dword v14, off, s[44:47], 0 offset:608
	s_waitcnt vmcnt(1)
	v_add_co_u32 v33, vcc_lo, s14, v13
	s_waitcnt vmcnt(0)
	v_add_co_ci_u32_e64 v34, null, s15, v14, vcc_lo
	s_clause 0x3
	buffer_load_dword v13, off, s[44:47], 0 offset:480
	buffer_load_dword v14, off, s[44:47], 0 offset:484
	;; [unrolled: 1-line block ×4, first 2 shown]
	s_waitcnt vmcnt(0)
	v_add_f64 v[43:44], v[20:21], -v[13:14]
	s_clause 0x1
	buffer_load_dword v13, off, s[44:47], 0 offset:492
	buffer_load_dword v14, off, s[44:47], 0 offset:496
	s_waitcnt vmcnt(0)
	v_add_f64 v[3:4], v[3:4], -v[13:14]
	s_clause 0x1
	buffer_load_dword v13, off, s[44:47], 0 offset:400
	buffer_load_dword v14, off, s[44:47], 0 offset:404
	s_waitcnt vmcnt(0)
	v_mul_f64 v[60:61], v[13:14], s[0:1]
	s_clause 0x1
	buffer_load_dword v13, off, s[44:47], 0 offset:532
	buffer_load_dword v14, off, s[44:47], 0 offset:536
	s_waitcnt vmcnt(0)
	v_fma_f64 v[60:61], v[13:14], s[16:17], -v[60:61]
	s_clause 0x1
	buffer_load_dword v13, off, s[44:47], 0 offset:564
	buffer_load_dword v14, off, s[44:47], 0 offset:568
	s_waitcnt vmcnt(0)
	v_mul_f64 v[74:75], v[13:14], s[0:1]
	s_clause 0x1
	buffer_load_dword v13, off, s[44:47], 0 offset:588
	buffer_load_dword v14, off, s[44:47], 0 offset:592
	s_waitcnt vmcnt(0)
	v_fma_f64 v[74:75], v[13:14], s[16:17], -v[74:75]
	s_clause 0x3
	buffer_load_dword v13, off, s[44:47], 0 offset:596
	buffer_load_dword v14, off, s[44:47], 0 offset:600
	;; [unrolled: 1-line block ×4, first 2 shown]
	s_waitcnt vmcnt(0)
	v_add_f64 v[78:79], v[20:21], -v[13:14]
	s_clause 0x3
	buffer_load_dword v13, off, s[44:47], 0 offset:440
	buffer_load_dword v14, off, s[44:47], 0 offset:444
	;; [unrolled: 1-line block ×4, first 2 shown]
	s_waitcnt vmcnt(0)
	v_add_f64 v[101:102], v[20:21], -v[13:14]
	s_clause 0x1
	buffer_load_dword v13, off, s[44:47], 0 offset:392
	buffer_load_dword v14, off, s[44:47], 0 offset:396
	v_mul_f64 v[39:40], v[101:102], s[0:1]
	s_waitcnt vmcnt(0)
	v_add_f64 v[35:36], v[35:36], -v[13:14]
	s_clause 0x1
	buffer_load_dword v13, off, s[44:47], 0 offset:880
	buffer_load_dword v14, off, s[44:47], 0 offset:884
	s_waitcnt vmcnt(0)
	v_add_f64 v[16:17], v[16:17], -v[13:14]
	s_clause 0x1
	buffer_load_dword v13, off, s[44:47], 0 offset:320
	buffer_load_dword v14, off, s[44:47], 0 offset:324
	v_fma_f64 v[16:17], v[16:17], s[16:17], -v[39:40]
	s_waitcnt vmcnt(0)
	v_mul_f64 v[87:88], v[13:14], s[0:1]
	s_clause 0x1
	buffer_load_dword v13, off, s[44:47], 0 offset:612
	buffer_load_dword v14, off, s[44:47], 0 offset:616
	v_fma_f64 v[87:88], v[31:32], s[16:17], -v[87:88]
	s_waitcnt vmcnt(0)
	v_add_f64 v[49:50], v[13:14], v[71:72]
	s_clause 0x1
	buffer_load_dword v13, off, s[44:47], 0 offset:464
	buffer_load_dword v14, off, s[44:47], 0 offset:468
	v_add_f64 v[49:50], v[49:50], v[74:75]
	s_waitcnt vmcnt(0)
	v_add_f64 v[26:27], v[13:14], v[26:27]
	s_clause 0x1
	buffer_load_dword v13, off, s[44:47], 0 offset:64
	buffer_load_dword v14, off, s[44:47], 0 offset:68
	v_add_f64 v[26:27], v[26:27], v[60:61]
	v_add_f64 v[26:27], v[87:88], v[26:27]
	s_waitcnt vmcnt(0)
	v_mul_f64 v[30:31], v[13:14], s[0:1]
	s_clause 0x1
	buffer_load_dword v13, off, s[44:47], 0 offset:72
	buffer_load_dword v14, off, s[44:47], 0 offset:76
	s_clause 0x1
	global_load_dwordx2 v[28:29], v[28:29], off
	global_load_dwordx2 v[32:33], v[33:34], off
	s_clause 0x1
	buffer_load_dword v20, off, s[44:47], 0 offset:508
	buffer_load_dword v21, off, s[44:47], 0 offset:512
	s_waitcnt vmcnt(4)
	v_fma_f64 v[30:31], v[13:14], s[16:17], -v[30:31]
	v_mul_f64 v[13:14], v[92:93], v[55:56]
	s_waitcnt vmcnt(0)
	v_mul_f64 v[60:61], v[20:21], v[28:29]
	s_clause 0x5
	buffer_load_dword v20, off, s[44:47], 0 offset:424
	buffer_load_dword v21, off, s[44:47], 0 offset:428
	;; [unrolled: 1-line block ×6, first 2 shown]
	v_add_f64 v[30:31], v[30:31], v[49:50]
	v_mul_f64 v[13:14], v[84:85], v[13:14]
	v_add_f64 v[16:17], v[30:31], v[16:17]
	v_mul_f64 v[13:14], v[107:108], v[13:14]
	v_fma_f64 v[13:14], v[53:54], v[13:14], v[51:52]
	v_add_f64 v[9:10], v[9:10], -v[13:14]
	s_clause 0x1
	buffer_load_dword v13, off, s[44:47], 0 offset:88
	buffer_load_dword v14, off, s[44:47], 0 offset:92
	v_mul_f64 v[9:10], v[9:10], s[0:1]
	s_waitcnt vmcnt(6)
	v_mul_f64 v[28:29], v[20:21], v[28:29]
	v_mul_f64 v[71:72], v[20:21], v[32:33]
	s_waitcnt vmcnt(2)
	v_mul_f64 v[60:61], v[45:46], v[60:61]
	v_mul_f64 v[32:33], v[55:56], v[32:33]
	;; [unrolled: 1-line block ×15, first 2 shown]
	v_fma_f64 v[3:4], v[3:4], s[16:17], -v[22:23]
	v_mul_f64 v[60:61], v[53:54], v[60:61]
	s_waitcnt vmcnt(0)
	v_add_f64 v[13:14], v[41:42], -v[13:14]
	v_fma_f64 v[32:33], v[63:64], v[32:33], v[60:61]
	v_mul_f64 v[60:61], v[63:64], v[28:29]
	v_mul_f64 v[28:29], v[123:124], v[28:29]
	;; [unrolled: 1-line block ×5, first 2 shown]
	v_fma_f64 v[7:8], v[7:8], v[28:29], v[20:21]
	v_mul_f64 v[20:21], v[53:54], v[96:97]
	v_mul_f64 v[28:29], v[78:79], s[0:1]
	v_fma_f64 v[37:38], v[53:54], v[62:63], v[47:48]
	v_mul_f64 v[60:61], v[53:54], v[60:61]
	v_fma_f64 v[20:21], v[67:68], v[76:77], v[20:21]
	v_fma_f64 v[22:23], v[35:36], s[16:17], -v[28:29]
	s_clause 0x3
	buffer_load_dword v28, off, s[44:47], 0 offset:80
	buffer_load_dword v29, off, s[44:47], 0 offset:84
	;; [unrolled: 1-line block ×4, first 2 shown]
	v_fma_f64 v[60:61], v[57:58], v[71:72], v[60:61]
	v_mul_f64 v[57:58], v[123:124], v[74:75]
	v_fma_f64 v[22:23], v[89:90], v[22:23], v[26:27]
	v_add_f64 v[20:21], v[60:61], -v[20:21]
	v_fma_f64 v[32:33], v[53:54], v[57:58], v[32:33]
	v_fma_f64 v[11:12], v[20:21], s[16:17], -v[11:12]
	v_add_f64 v[32:33], v[32:33], -v[37:38]
	v_fma_f64 v[20:21], v[32:33], s[16:17], -v[9:10]
	v_add_f64 v[9:10], v[22:23], v[11:12]
	s_clause 0x1
	buffer_load_dword v11, off, s[44:47], 0 offset:800
	buffer_load_dword v12, off, s[44:47], 0 offset:804
	s_waitcnt vmcnt(4)
	v_add_f64 v[28:29], v[105:106], v[28:29]
	s_waitcnt vmcnt(2)
	v_add_f64 v[7:8], v[7:8], -v[34:35]
	v_fma_f64 v[3:4], v[89:90], v[3:4], v[28:29]
	v_fma_f64 v[13:14], v[7:8], s[16:17], -v[13:14]
	v_add_f64 v[7:8], v[16:17], v[20:21]
	v_subrev_nc_u32_e32 v17, s22, v59
	v_subrev_nc_u32_e32 v20, s22, v69
	v_fma_f64 v[3:4], v[53:54], v[13:14], v[3:4]
	s_waitcnt vmcnt(1)
	v_subrev_nc_u32_e32 v16, s22, v11
.LBB4_11:                               ; =>This Inner Loop Header: Depth=1
	v_add_nc_u32_e32 v11, s18, v18
	v_add_nc_u32_e32 v13, s18, v20
	;; [unrolled: 1-line block ×5, first 2 shown]
	s_waitcnt vmcnt(0)
	v_ashrrev_i32_e32 v12, 31, v11
	v_ashrrev_i32_e32 v14, 31, v13
	v_ashrrev_i32_e32 v31, 31, v30
	v_ashrrev_i32_e32 v33, 31, v32
	v_add_nc_u32_e32 v34, s18, v15
	v_lshlrev_b64 v[11:12], 3, v[11:12]
	v_lshlrev_b64 v[13:14], 3, v[13:14]
	v_ashrrev_i32_e32 v22, 31, v21
	v_lshlrev_b64 v[55:56], 3, v[30:31]
	v_add_nc_u32_e32 v23, s18, v17
	v_lshlrev_b64 v[57:58], 3, v[32:33]
	v_add_co_u32 v30, vcc_lo, s10, v11
	v_add_co_ci_u32_e64 v31, null, s11, v12, vcc_lo
	v_add_co_u32 v32, vcc_lo, s12, v11
	v_ashrrev_i32_e32 v35, 31, v34
	v_lshlrev_b64 v[50:51], 3, v[21:22]
	v_add_co_ci_u32_e64 v33, null, s13, v12, vcc_lo
	v_add_co_u32 v68, vcc_lo, s14, v13
	v_ashrrev_i32_e32 v24, 31, v23
	v_add_co_ci_u32_e64 v69, null, s15, v14, vcc_lo
	v_add_co_u32 v71, vcc_lo, s14, v11
	v_lshlrev_b64 v[59:60], 3, v[34:35]
	v_add_co_ci_u32_e64 v72, null, s15, v12, vcc_lo
	v_add_co_u32 v34, vcc_lo, s8, v11
	v_add_co_ci_u32_e64 v35, null, s9, v12, vcc_lo
	v_add_co_u32 v73, vcc_lo, s14, v50
	v_lshlrev_b64 v[21:22], 3, v[23:24]
	v_add_co_ci_u32_e64 v74, null, s15, v51, vcc_lo
	v_add_co_u32 v23, vcc_lo, s8, v13
	v_add_co_ci_u32_e64 v24, null, s9, v14, vcc_lo
	v_add_co_u32 v75, vcc_lo, s14, v21
	v_add_co_ci_u32_e64 v76, null, s15, v22, vcc_lo
	s_clause 0x1
	global_load_dwordx4 v[11:14], v[23:24], off offset:8
	global_load_dwordx4 v[21:24], v[23:24], off offset:-16
	v_add_nc_u32_e32 v26, s18, v98
	v_add_nc_u32_e32 v28, s18, v120
	;; [unrolled: 1-line block ×5, first 2 shown]
	v_ashrrev_i32_e32 v27, 31, v26
	v_ashrrev_i32_e32 v29, 31, v28
	;; [unrolled: 1-line block ×5, first 2 shown]
	v_lshlrev_b64 v[26:27], 3, v[26:27]
	v_lshlrev_b64 v[28:29], 3, v[28:29]
	;; [unrolled: 1-line block ×3, first 2 shown]
	v_add_co_u32 v38, vcc_lo, s8, v50
	v_add_co_ci_u32_e64 v39, null, s9, v51, vcc_lo
	v_add_co_u32 v50, vcc_lo, s8, v26
	v_add_co_ci_u32_e64 v51, null, s9, v27, vcc_lo
	v_add_co_u32 v77, vcc_lo, s8, v28
	v_lshlrev_b64 v[61:62], 3, v[36:37]
	v_lshlrev_b64 v[66:67], 3, v[40:41]
	v_add_co_ci_u32_e64 v78, null, s9, v29, vcc_lo
	global_load_dwordx2 v[79:80], v[30:31], off
	global_load_dwordx2 v[81:82], v[32:33], off
	s_clause 0x3
	global_load_dwordx4 v[26:29], v[34:35], off offset:8
	global_load_dwordx4 v[30:33], v[34:35], off offset:-16
	global_load_dwordx4 v[34:37], v[38:39], off offset:8
	global_load_dwordx4 v[38:41], v[38:39], off offset:-16
	s_clause 0x1
	global_load_dwordx2 v[68:69], v[68:69], off
	global_load_dwordx2 v[83:84], v[71:72], off
	v_add_nc_u32_e32 v42, s18, v113
	v_add_nc_u32_e32 v44, s18, v116
	v_add_co_u32 v55, vcc_lo, s8, v55
	v_add_co_ci_u32_e64 v56, null, s9, v56, vcc_lo
	v_ashrrev_i32_e32 v43, 31, v42
	v_add_co_u32 v57, vcc_lo, s8, v57
	v_ashrrev_i32_e32 v45, 31, v44
	v_add_co_ci_u32_e64 v58, null, s9, v58, vcc_lo
	v_add_co_u32 v59, vcc_lo, s8, v59
	v_lshlrev_b64 v[42:43], 3, v[42:43]
	v_add_co_ci_u32_e64 v60, null, s9, v60, vcc_lo
	v_add_co_u32 v61, vcc_lo, s8, v61
	v_lshlrev_b64 v[44:45], 3, v[44:45]
	v_add_co_ci_u32_e64 v62, null, s9, v62, vcc_lo
	v_add_co_u32 v63, vcc_lo, s8, v63
	v_add_co_ci_u32_e64 v64, null, s9, v64, vcc_lo
	v_add_co_u32 v66, vcc_lo, s8, v66
	;; [unrolled: 2-line block ×4, first 2 shown]
	v_add_co_ci_u32_e64 v45, null, s9, v45, vcc_lo
	global_load_dwordx2 v[72:73], v[73:74], off
	s_clause 0x5
	global_load_dwordx2 v[50:51], v[50:51], off
	global_load_dwordx2 v[77:78], v[77:78], off
	;; [unrolled: 1-line block ×6, first 2 shown]
	v_add_nc_u32_e32 v46, s18, v0
	v_add_nc_u32_e32 v48, s18, v19
	v_ashrrev_i32_e32 v71, 31, v70
	v_add_nc_u32_e32 v65, s20, v65
	v_add_nc_u32_e32 v115, s20, v115
	v_ashrrev_i32_e32 v47, 31, v46
	v_ashrrev_i32_e32 v49, 31, v48
	v_lshlrev_b64 v[87:88], 3, v[70:71]
	v_add_nc_u32_e32 v19, s20, v19
	v_add_nc_u32_e32 v25, s20, v25
	v_lshlrev_b64 v[46:47], 3, v[46:47]
	v_lshlrev_b64 v[48:49], 3, v[48:49]
	v_add_nc_u32_e32 v86, s20, v86
	v_add_nc_u32_e32 v0, s20, v0
	;; [unrolled: 1-line block ×4, first 2 shown]
	v_add_co_u32 v46, vcc_lo, s8, v46
	v_add_co_ci_u32_e64 v47, null, s9, v47, vcc_lo
	v_add_co_u32 v48, vcc_lo, s8, v48
	v_add_co_ci_u32_e64 v49, null, s9, v49, vcc_lo
	global_load_dwordx2 v[74:75], v[75:76], off
	s_clause 0x5
	global_load_dwordx2 v[55:56], v[55:56], off
	global_load_dwordx2 v[57:58], v[57:58], off
	;; [unrolled: 1-line block ×6, first 2 shown]
	v_add_co_u32 v87, vcc_lo, s6, v87
	v_add_co_ci_u32_e64 v88, null, s7, v88, vcc_lo
	v_add_nc_u32_e32 v116, s20, v116
	v_add_nc_u32_e32 v98, s20, v98
	;; [unrolled: 1-line block ×3, first 2 shown]
	global_load_dwordx2 v[87:88], v[87:88], off
	v_add_nc_u32_e32 v113, s20, v113
	v_add_nc_u32_e32 v16, s20, v16
	;; [unrolled: 1-line block ×5, first 2 shown]
	v_add_nc_u32_e32 v70, -6, v70
	s_add_i32 s30, s30, 1
	s_cmp_ge_i32 s30, s19
	s_waitcnt vmcnt(23)
	v_add_f64 v[13:14], v[13:14], -v[21:22]
	v_add_f64 v[11:12], v[11:12], -v[23:24]
	v_mul_f64 v[13:14], v[13:14], s[0:1]
	s_waitcnt vmcnt(21)
	v_fma_f64 v[21:22], v[79:80], 2.0, v[81:82]
	s_waitcnt vmcnt(19)
	v_add_f64 v[28:29], v[28:29], -v[30:31]
	v_add_f64 v[26:27], v[26:27], -v[32:33]
	s_waitcnt vmcnt(17)
	v_add_f64 v[23:24], v[36:37], -v[38:39]
	s_waitcnt vmcnt(16)
	v_mul_f64 v[30:31], v[79:80], v[68:69]
	v_add_f64 v[32:33], v[34:35], -v[40:41]
	v_fma_f64 v[11:12], v[11:12], s[16:17], -v[13:14]
	v_mul_f64 v[34:35], v[21:22], v[68:69]
	v_mul_f64 v[28:29], v[28:29], s[0:1]
	;; [unrolled: 1-line block ×3, first 2 shown]
	s_waitcnt vmcnt(15)
	v_mul_f64 v[30:31], v[30:31], v[83:84]
	s_waitcnt vmcnt(14)
	v_mul_f64 v[38:39], v[79:80], v[72:73]
	v_mul_f64 v[21:22], v[21:22], v[72:73]
	s_waitcnt vmcnt(12)
	v_add_f64 v[13:14], v[50:51], -v[77:78]
	v_mul_f64 v[50:51], v[81:82], v[72:73]
	s_waitcnt vmcnt(10)
	v_add_f64 v[36:37], v[59:60], -v[61:62]
	;; [unrolled: 3-line block ×3, first 2 shown]
	v_fma_f64 v[26:27], v[26:27], s[16:17], -v[28:29]
	v_fma_f64 v[23:24], v[32:33], s[16:17], -v[23:24]
	v_mul_f64 v[28:29], v[30:31], v[11:12]
	v_mul_f64 v[38:39], v[83:84], v[38:39]
	;; [unrolled: 1-line block ×4, first 2 shown]
	s_waitcnt vmcnt(7)
	v_mul_f64 v[32:33], v[79:80], v[74:75]
	v_mul_f64 v[36:37], v[36:37], s[0:1]
	s_waitcnt vmcnt(5)
	v_add_f64 v[42:43], v[55:56], -v[57:58]
	v_mul_f64 v[40:41], v[40:41], s[0:1]
	s_waitcnt vmcnt(3)
	v_add_f64 v[44:45], v[63:64], -v[66:67]
	;; [unrolled: 3-line block ×3, first 2 shown]
	v_mul_f64 v[48:49], v[81:82], v[74:75]
	v_mul_f64 v[55:56], v[30:31], v[23:24]
	;; [unrolled: 1-line block ×6, first 2 shown]
	v_fma_f64 v[13:14], v[42:43], s[16:17], -v[13:14]
	v_fma_f64 v[36:37], v[44:45], s[16:17], -v[36:37]
	v_mul_f64 v[34:35], v[1:2], v[34:35]
	v_fma_f64 v[40:41], v[46:47], s[16:17], -v[40:41]
	v_mul_f64 v[48:49], v[83:84], v[48:49]
	v_mul_f64 v[42:43], v[1:2], v[55:56]
	v_mul_f64 v[28:29], v[89:90], v[28:29]
	v_mul_f64 v[23:24], v[32:33], v[23:24]
	v_mul_f64 v[44:45], v[38:39], v[13:14]
	v_mul_f64 v[21:22], v[21:22], v[36:37]
	v_fma_f64 v[11:12], v[89:90], v[34:35], v[11:12]
	v_mul_f64 v[38:39], v[38:39], v[40:41]
	v_mul_f64 v[46:47], v[26:27], v[48:49]
	;; [unrolled: 1-line block ×3, first 2 shown]
	v_fma_f64 v[26:27], v[50:51], v[26:27], v[28:29]
	v_mul_f64 v[28:29], v[81:82], v[68:69]
	v_mul_f64 v[42:43], v[5:6], v[44:45]
	;; [unrolled: 1-line block ×3, first 2 shown]
	v_fma_f64 v[11:12], v[89:90], v[23:24], v[11:12]
	v_mul_f64 v[38:39], v[5:6], v[38:39]
	v_fma_f64 v[23:24], v[89:90], v[46:47], v[34:35]
	v_fma_f64 v[13:14], v[30:31], v[13:14], v[26:27]
	v_mul_f64 v[26:27], v[28:29], v[83:84]
	v_mul_f64 v[28:29], v[32:33], v[40:41]
	;; [unrolled: 1-line block ×3, first 2 shown]
	v_fma_f64 v[11:12], v[53:54], v[42:43], v[11:12]
	v_fma_f64 v[23:24], v[53:54], v[38:39], v[23:24]
	;; [unrolled: 1-line block ×6, first 2 shown]
	s_waitcnt vmcnt(0)
	v_fma_f64 v[9:10], -v[87:88], v[11:12], v[9:10]
	v_fma_f64 v[3:4], -v[87:88], v[21:22], v[3:4]
	;; [unrolled: 1-line block ×3, first 2 shown]
	s_cbranch_scc0 .LBB4_11
; %bb.12:
	s_clause 0x1
	buffer_load_dword v11, off, s[44:47], 0 offset:240
	buffer_load_dword v12, off, s[44:47], 0 offset:244
	v_mul_f64 v[0:1], v[1:2], v[5:6]
	s_load_dwordx4 s[4:7], s[4:5], 0x38
	s_waitcnt lgkmcnt(0)
	v_mul_f64 v[9:10], s[6:7], v[9:10]
	v_mul_f64 v[7:8], s[6:7], v[7:8]
	;; [unrolled: 1-line block ×3, first 2 shown]
	s_waitcnt vmcnt(1)
	v_add_co_u32 v11, vcc_lo, s2, v11
	s_waitcnt vmcnt(0)
	v_add_co_ci_u32_e64 v12, null, s3, v12, vcc_lo
	global_load_dwordx2 v[13:14], v[11:12], off
	s_clause 0x1
	buffer_load_dword v21, off, s[44:47], 0 offset:232
	buffer_load_dword v22, off, s[44:47], 0 offset:236
	s_waitcnt vmcnt(0)
	v_div_scale_f64 v[5:6], null, v[21:22], v[21:22], v[0:1]
	v_div_scale_f64 v[19:20], vcc_lo, v[0:1], v[21:22], v[0:1]
	v_rcp_f64_e32 v[15:16], v[5:6]
	v_fma_f64 v[17:18], -v[5:6], v[15:16], 1.0
	v_fma_f64 v[15:16], v[15:16], v[17:18], v[15:16]
	v_fma_f64 v[17:18], -v[5:6], v[15:16], 1.0
	v_fma_f64 v[15:16], v[15:16], v[17:18], v[15:16]
	v_mul_f64 v[17:18], v[19:20], v[15:16]
	v_fma_f64 v[5:6], -v[5:6], v[17:18], v[19:20]
	v_div_fmas_f64 v[5:6], v[5:6], v[15:16], v[17:18]
	v_div_fixup_f64 v[0:1], v[5:6], v[21:22], v[0:1]
	v_mul_f64 v[5:6], s[4:5], v[13:14]
	v_fma_f64 v[5:6], v[0:1], v[9:10], v[5:6]
	s_clause 0x1
	buffer_load_dword v9, off, s[44:47], 0 offset:344
	buffer_load_dword v10, off, s[44:47], 0 offset:348
	global_store_dwordx2 v[11:12], v[5:6], off
	s_waitcnt vmcnt(1)
	v_add_co_u32 v9, vcc_lo, s2, v9
	s_waitcnt vmcnt(0)
	v_add_co_ci_u32_e64 v10, null, s3, v10, vcc_lo
	global_load_dwordx2 v[5:6], v[9:10], off
	s_waitcnt vmcnt(0)
	v_mul_f64 v[5:6], s[4:5], v[5:6]
	v_fma_f64 v[5:6], v[0:1], v[7:8], v[5:6]
	s_clause 0x1
	buffer_load_dword v7, off, s[44:47], 0 offset:500
	buffer_load_dword v8, off, s[44:47], 0 offset:504
	global_store_dwordx2 v[9:10], v[5:6], off
	s_waitcnt vmcnt(1)
	v_add_co_u32 v7, vcc_lo, s2, v7
	s_waitcnt vmcnt(0)
	v_add_co_ci_u32_e64 v8, null, s3, v8, vcc_lo
	global_load_dwordx2 v[5:6], v[7:8], off
	s_waitcnt vmcnt(0)
	v_mul_f64 v[5:6], s[4:5], v[5:6]
	v_fma_f64 v[0:1], v[0:1], v[2:3], v[5:6]
	global_store_dwordx2 v[7:8], v[0:1], off
.LBB4_13:
	s_endpgm
	.section	.rodata,"a",@progbits
	.p2align	6, 0x0
	.amdhsa_kernel _Z7kernel5iiiiiiiiiiiiiddPKdS0_S0_S0_S0_PdS0_S0_S0_S0_S0_S0_S0_
		.amdhsa_group_segment_fixed_size 0
		.amdhsa_private_segment_fixed_size 940
		.amdhsa_kernarg_size 432
		.amdhsa_user_sgpr_count 6
		.amdhsa_user_sgpr_private_segment_buffer 1
		.amdhsa_user_sgpr_dispatch_ptr 0
		.amdhsa_user_sgpr_queue_ptr 0
		.amdhsa_user_sgpr_kernarg_segment_ptr 1
		.amdhsa_user_sgpr_dispatch_id 0
		.amdhsa_user_sgpr_flat_scratch_init 0
		.amdhsa_user_sgpr_private_segment_size 0
		.amdhsa_wavefront_size32 1
		.amdhsa_uses_dynamic_stack 0
		.amdhsa_system_sgpr_private_segment_wavefront_offset 1
		.amdhsa_system_sgpr_workgroup_id_x 1
		.amdhsa_system_sgpr_workgroup_id_y 1
		.amdhsa_system_sgpr_workgroup_id_z 1
		.amdhsa_system_sgpr_workgroup_info 0
		.amdhsa_system_vgpr_workitem_id 2
		.amdhsa_next_free_vgpr 128
		.amdhsa_next_free_sgpr 48
		.amdhsa_reserve_vcc 1
		.amdhsa_reserve_flat_scratch 0
		.amdhsa_float_round_mode_32 0
		.amdhsa_float_round_mode_16_64 0
		.amdhsa_float_denorm_mode_32 3
		.amdhsa_float_denorm_mode_16_64 3
		.amdhsa_dx10_clamp 1
		.amdhsa_ieee_mode 1
		.amdhsa_fp16_overflow 0
		.amdhsa_workgroup_processor_mode 1
		.amdhsa_memory_ordered 1
		.amdhsa_forward_progress 1
		.amdhsa_shared_vgpr_count 0
		.amdhsa_exception_fp_ieee_invalid_op 0
		.amdhsa_exception_fp_denorm_src 0
		.amdhsa_exception_fp_ieee_div_zero 0
		.amdhsa_exception_fp_ieee_overflow 0
		.amdhsa_exception_fp_ieee_underflow 0
		.amdhsa_exception_fp_ieee_inexact 0
		.amdhsa_exception_int_div_zero 0
	.end_amdhsa_kernel
	.text
.Lfunc_end4:
	.size	_Z7kernel5iiiiiiiiiiiiiddPKdS0_S0_S0_S0_PdS0_S0_S0_S0_S0_S0_S0_, .Lfunc_end4-_Z7kernel5iiiiiiiiiiiiiddPKdS0_S0_S0_S0_PdS0_S0_S0_S0_S0_S0_S0_
                                        ; -- End function
	.set _Z7kernel5iiiiiiiiiiiiiddPKdS0_S0_S0_S0_PdS0_S0_S0_S0_S0_S0_S0_.num_vgpr, 128
	.set _Z7kernel5iiiiiiiiiiiiiddPKdS0_S0_S0_S0_PdS0_S0_S0_S0_S0_S0_S0_.num_agpr, 0
	.set _Z7kernel5iiiiiiiiiiiiiddPKdS0_S0_S0_S0_PdS0_S0_S0_S0_S0_S0_S0_.numbered_sgpr, 48
	.set _Z7kernel5iiiiiiiiiiiiiddPKdS0_S0_S0_S0_PdS0_S0_S0_S0_S0_S0_S0_.num_named_barrier, 0
	.set _Z7kernel5iiiiiiiiiiiiiddPKdS0_S0_S0_S0_PdS0_S0_S0_S0_S0_S0_S0_.private_seg_size, 940
	.set _Z7kernel5iiiiiiiiiiiiiddPKdS0_S0_S0_S0_PdS0_S0_S0_S0_S0_S0_S0_.uses_vcc, 1
	.set _Z7kernel5iiiiiiiiiiiiiddPKdS0_S0_S0_S0_PdS0_S0_S0_S0_S0_S0_S0_.uses_flat_scratch, 0
	.set _Z7kernel5iiiiiiiiiiiiiddPKdS0_S0_S0_S0_PdS0_S0_S0_S0_S0_S0_S0_.has_dyn_sized_stack, 0
	.set _Z7kernel5iiiiiiiiiiiiiddPKdS0_S0_S0_S0_PdS0_S0_S0_S0_S0_S0_S0_.has_recursion, 0
	.set _Z7kernel5iiiiiiiiiiiiiddPKdS0_S0_S0_S0_PdS0_S0_S0_S0_S0_S0_S0_.has_indirect_call, 0
	.section	.AMDGPU.csdata,"",@progbits
; Kernel info:
; codeLenInByte = 19492
; TotalNumSgprs: 50
; NumVgprs: 128
; ScratchSize: 940
; MemoryBound: 0
; FloatMode: 240
; IeeeMode: 1
; LDSByteSize: 0 bytes/workgroup (compile time only)
; SGPRBlocks: 0
; VGPRBlocks: 15
; NumSGPRsForWavesPerEU: 50
; NumVGPRsForWavesPerEU: 128
; Occupancy: 8
; WaveLimiterHint : 0
; COMPUTE_PGM_RSRC2:SCRATCH_EN: 1
; COMPUTE_PGM_RSRC2:USER_SGPR: 6
; COMPUTE_PGM_RSRC2:TRAP_HANDLER: 0
; COMPUTE_PGM_RSRC2:TGID_X_EN: 1
; COMPUTE_PGM_RSRC2:TGID_Y_EN: 1
; COMPUTE_PGM_RSRC2:TGID_Z_EN: 1
; COMPUTE_PGM_RSRC2:TIDIG_COMP_CNT: 2
	.text
	.p2alignl 6, 3214868480
	.fill 48, 4, 3214868480
	.section	.AMDGPU.gpr_maximums,"",@progbits
	.set amdgpu.max_num_vgpr, 0
	.set amdgpu.max_num_agpr, 0
	.set amdgpu.max_num_sgpr, 0
	.text
	.type	__hip_cuid_9f31240b84fdb1b,@object ; @__hip_cuid_9f31240b84fdb1b
	.section	.bss,"aw",@nobits
	.globl	__hip_cuid_9f31240b84fdb1b
__hip_cuid_9f31240b84fdb1b:
	.byte	0                               ; 0x0
	.size	__hip_cuid_9f31240b84fdb1b, 1

	.ident	"AMD clang version 22.0.0git (https://github.com/RadeonOpenCompute/llvm-project roc-7.2.4 26084 f58b06dce1f9c15707c5f808fd002e18c2accf7e)"
	.section	".note.GNU-stack","",@progbits
	.addrsig
	.addrsig_sym __hip_cuid_9f31240b84fdb1b
	.amdgpu_metadata
---
amdhsa.kernels:
  - .args:
      - .offset:         0
        .size:           4
        .value_kind:     by_value
      - .offset:         4
        .size:           4
        .value_kind:     by_value
      - .offset:         8
        .size:           4
        .value_kind:     by_value
      - .offset:         12
        .size:           4
        .value_kind:     by_value
      - .offset:         16
        .size:           4
        .value_kind:     by_value
      - .offset:         20
        .size:           4
        .value_kind:     by_value
      - .offset:         24
        .size:           4
        .value_kind:     by_value
      - .offset:         28
        .size:           4
        .value_kind:     by_value
      - .offset:         32
        .size:           4
        .value_kind:     by_value
      - .offset:         36
        .size:           4
        .value_kind:     by_value
      - .offset:         40
        .size:           4
        .value_kind:     by_value
      - .offset:         44
        .size:           4
        .value_kind:     by_value
      - .offset:         48
        .size:           8
        .value_kind:     by_value
      - .offset:         56
        .size:           8
        .value_kind:     by_value
      - .actual_access:  read_only
        .address_space:  global
        .offset:         64
        .size:           8
        .value_kind:     global_buffer
      - .actual_access:  read_only
        .address_space:  global
        .offset:         72
        .size:           8
        .value_kind:     global_buffer
      - .actual_access:  read_only
        .address_space:  global
        .offset:         80
        .size:           8
        .value_kind:     global_buffer
      - .actual_access:  read_only
        .address_space:  global
        .offset:         88
        .size:           8
        .value_kind:     global_buffer
      - .actual_access:  read_only
        .address_space:  global
        .offset:         96
        .size:           8
        .value_kind:     global_buffer
      - .address_space:  global
        .offset:         104
        .size:           8
        .value_kind:     global_buffer
      - .actual_access:  read_only
        .address_space:  global
        .offset:         112
        .size:           8
        .value_kind:     global_buffer
      - .actual_access:  read_only
        .address_space:  global
        .offset:         120
        .size:           8
        .value_kind:     global_buffer
      - .actual_access:  read_only
        .address_space:  global
        .offset:         128
        .size:           8
        .value_kind:     global_buffer
      - .actual_access:  read_only
        .address_space:  global
        .offset:         136
        .size:           8
        .value_kind:     global_buffer
      - .actual_access:  read_only
        .address_space:  global
        .offset:         144
        .size:           8
        .value_kind:     global_buffer
      - .actual_access:  read_only
        .address_space:  global
        .offset:         152
        .size:           8
        .value_kind:     global_buffer
      - .actual_access:  read_only
        .address_space:  global
        .offset:         160
        .size:           8
        .value_kind:     global_buffer
      - .offset:         168
        .size:           4
        .value_kind:     hidden_block_count_x
      - .offset:         172
        .size:           4
        .value_kind:     hidden_block_count_y
      - .offset:         176
        .size:           4
        .value_kind:     hidden_block_count_z
      - .offset:         180
        .size:           2
        .value_kind:     hidden_group_size_x
      - .offset:         182
        .size:           2
        .value_kind:     hidden_group_size_y
      - .offset:         184
        .size:           2
        .value_kind:     hidden_group_size_z
      - .offset:         186
        .size:           2
        .value_kind:     hidden_remainder_x
      - .offset:         188
        .size:           2
        .value_kind:     hidden_remainder_y
      - .offset:         190
        .size:           2
        .value_kind:     hidden_remainder_z
      - .offset:         208
        .size:           8
        .value_kind:     hidden_global_offset_x
      - .offset:         216
        .size:           8
        .value_kind:     hidden_global_offset_y
      - .offset:         224
        .size:           8
        .value_kind:     hidden_global_offset_z
      - .offset:         232
        .size:           2
        .value_kind:     hidden_grid_dims
    .group_segment_fixed_size: 0
    .kernarg_segment_align: 8
    .kernarg_segment_size: 424
    .language:       OpenCL C
    .language_version:
      - 2
      - 0
    .max_flat_workgroup_size: 1024
    .name:           _Z7kernel1iiiiiiiiiiiiddPKdS0_S0_S0_S0_PdS0_S0_S0_S0_S0_S0_S0_
    .private_segment_fixed_size: 936
    .sgpr_count:     50
    .sgpr_spill_count: 0
    .symbol:         _Z7kernel1iiiiiiiiiiiiddPKdS0_S0_S0_S0_PdS0_S0_S0_S0_S0_S0_S0_.kd
    .uniform_work_group_size: 1
    .uses_dynamic_stack: false
    .vgpr_count:     128
    .vgpr_spill_count: 267
    .wavefront_size: 32
    .workgroup_processor_mode: 1
  - .args:
      - .offset:         0
        .size:           4
        .value_kind:     by_value
      - .offset:         4
        .size:           4
        .value_kind:     by_value
      - .offset:         8
        .size:           4
        .value_kind:     by_value
      - .offset:         12
        .size:           4
        .value_kind:     by_value
      - .offset:         16
        .size:           4
        .value_kind:     by_value
      - .offset:         20
        .size:           4
        .value_kind:     by_value
      - .offset:         24
        .size:           4
        .value_kind:     by_value
      - .offset:         28
        .size:           4
        .value_kind:     by_value
      - .offset:         32
        .size:           4
        .value_kind:     by_value
      - .offset:         36
        .size:           4
        .value_kind:     by_value
      - .offset:         40
        .size:           4
        .value_kind:     by_value
      - .offset:         44
        .size:           4
        .value_kind:     by_value
      - .offset:         48
        .size:           8
        .value_kind:     by_value
      - .offset:         56
        .size:           8
        .value_kind:     by_value
      - .actual_access:  read_only
        .address_space:  global
        .offset:         64
        .size:           8
        .value_kind:     global_buffer
      - .actual_access:  read_only
        .address_space:  global
        .offset:         72
        .size:           8
        .value_kind:     global_buffer
      - .actual_access:  read_only
        .address_space:  global
        .offset:         80
        .size:           8
        .value_kind:     global_buffer
      - .actual_access:  read_only
        .address_space:  global
        .offset:         88
        .size:           8
        .value_kind:     global_buffer
      - .actual_access:  read_only
        .address_space:  global
        .offset:         96
        .size:           8
        .value_kind:     global_buffer
      - .address_space:  global
        .offset:         104
        .size:           8
        .value_kind:     global_buffer
      - .actual_access:  read_only
        .address_space:  global
        .offset:         112
        .size:           8
        .value_kind:     global_buffer
      - .actual_access:  read_only
        .address_space:  global
        .offset:         120
        .size:           8
        .value_kind:     global_buffer
      - .actual_access:  read_only
        .address_space:  global
        .offset:         128
        .size:           8
        .value_kind:     global_buffer
      - .actual_access:  read_only
        .address_space:  global
        .offset:         136
        .size:           8
        .value_kind:     global_buffer
      - .actual_access:  read_only
        .address_space:  global
        .offset:         144
        .size:           8
        .value_kind:     global_buffer
      - .actual_access:  read_only
        .address_space:  global
        .offset:         152
        .size:           8
        .value_kind:     global_buffer
      - .actual_access:  read_only
        .address_space:  global
        .offset:         160
        .size:           8
        .value_kind:     global_buffer
      - .offset:         168
        .size:           4
        .value_kind:     hidden_block_count_x
      - .offset:         172
        .size:           4
        .value_kind:     hidden_block_count_y
      - .offset:         176
        .size:           4
        .value_kind:     hidden_block_count_z
      - .offset:         180
        .size:           2
        .value_kind:     hidden_group_size_x
      - .offset:         182
        .size:           2
        .value_kind:     hidden_group_size_y
      - .offset:         184
        .size:           2
        .value_kind:     hidden_group_size_z
      - .offset:         186
        .size:           2
        .value_kind:     hidden_remainder_x
      - .offset:         188
        .size:           2
        .value_kind:     hidden_remainder_y
      - .offset:         190
        .size:           2
        .value_kind:     hidden_remainder_z
      - .offset:         208
        .size:           8
        .value_kind:     hidden_global_offset_x
      - .offset:         216
        .size:           8
        .value_kind:     hidden_global_offset_y
      - .offset:         224
        .size:           8
        .value_kind:     hidden_global_offset_z
      - .offset:         232
        .size:           2
        .value_kind:     hidden_grid_dims
    .group_segment_fixed_size: 0
    .kernarg_segment_align: 8
    .kernarg_segment_size: 424
    .language:       OpenCL C
    .language_version:
      - 2
      - 0
    .max_flat_workgroup_size: 1024
    .name:           _Z7kernel2iiiiiiiiiiiiddPKdS0_S0_S0_S0_PdS0_S0_S0_S0_S0_S0_S0_
    .private_segment_fixed_size: 856
    .sgpr_count:     42
    .sgpr_spill_count: 0
    .symbol:         _Z7kernel2iiiiiiiiiiiiddPKdS0_S0_S0_S0_PdS0_S0_S0_S0_S0_S0_S0_.kd
    .uniform_work_group_size: 1
    .uses_dynamic_stack: false
    .vgpr_count:     128
    .vgpr_spill_count: 247
    .wavefront_size: 32
    .workgroup_processor_mode: 1
  - .args:
      - .offset:         0
        .size:           4
        .value_kind:     by_value
      - .offset:         4
        .size:           4
        .value_kind:     by_value
      - .offset:         8
        .size:           4
        .value_kind:     by_value
      - .offset:         12
        .size:           4
        .value_kind:     by_value
      - .offset:         16
        .size:           4
        .value_kind:     by_value
      - .offset:         20
        .size:           4
        .value_kind:     by_value
      - .offset:         24
        .size:           4
        .value_kind:     by_value
      - .offset:         28
        .size:           4
        .value_kind:     by_value
      - .offset:         32
        .size:           4
        .value_kind:     by_value
      - .offset:         36
        .size:           4
        .value_kind:     by_value
      - .offset:         40
        .size:           4
        .value_kind:     by_value
      - .offset:         44
        .size:           4
        .value_kind:     by_value
      - .offset:         48
        .size:           8
        .value_kind:     by_value
      - .offset:         56
        .size:           8
        .value_kind:     by_value
      - .actual_access:  read_only
        .address_space:  global
        .offset:         64
        .size:           8
        .value_kind:     global_buffer
      - .actual_access:  read_only
        .address_space:  global
        .offset:         72
        .size:           8
        .value_kind:     global_buffer
      - .actual_access:  read_only
        .address_space:  global
        .offset:         80
        .size:           8
        .value_kind:     global_buffer
      - .actual_access:  read_only
        .address_space:  global
        .offset:         88
        .size:           8
        .value_kind:     global_buffer
      - .actual_access:  read_only
        .address_space:  global
        .offset:         96
        .size:           8
        .value_kind:     global_buffer
      - .address_space:  global
        .offset:         104
        .size:           8
        .value_kind:     global_buffer
      - .actual_access:  read_only
        .address_space:  global
        .offset:         112
        .size:           8
        .value_kind:     global_buffer
      - .actual_access:  read_only
        .address_space:  global
        .offset:         120
        .size:           8
        .value_kind:     global_buffer
      - .actual_access:  read_only
        .address_space:  global
        .offset:         128
        .size:           8
        .value_kind:     global_buffer
      - .actual_access:  read_only
        .address_space:  global
        .offset:         136
        .size:           8
        .value_kind:     global_buffer
      - .actual_access:  read_only
        .address_space:  global
        .offset:         144
        .size:           8
        .value_kind:     global_buffer
      - .actual_access:  read_only
        .address_space:  global
        .offset:         152
        .size:           8
        .value_kind:     global_buffer
      - .actual_access:  read_only
        .address_space:  global
        .offset:         160
        .size:           8
        .value_kind:     global_buffer
      - .offset:         168
        .size:           4
        .value_kind:     hidden_block_count_x
      - .offset:         172
        .size:           4
        .value_kind:     hidden_block_count_y
      - .offset:         176
        .size:           4
        .value_kind:     hidden_block_count_z
      - .offset:         180
        .size:           2
        .value_kind:     hidden_group_size_x
      - .offset:         182
        .size:           2
        .value_kind:     hidden_group_size_y
      - .offset:         184
        .size:           2
        .value_kind:     hidden_group_size_z
      - .offset:         186
        .size:           2
        .value_kind:     hidden_remainder_x
      - .offset:         188
        .size:           2
        .value_kind:     hidden_remainder_y
      - .offset:         190
        .size:           2
        .value_kind:     hidden_remainder_z
      - .offset:         208
        .size:           8
        .value_kind:     hidden_global_offset_x
      - .offset:         216
        .size:           8
        .value_kind:     hidden_global_offset_y
      - .offset:         224
        .size:           8
        .value_kind:     hidden_global_offset_z
      - .offset:         232
        .size:           2
        .value_kind:     hidden_grid_dims
    .group_segment_fixed_size: 0
    .kernarg_segment_align: 8
    .kernarg_segment_size: 424
    .language:       OpenCL C
    .language_version:
      - 2
      - 0
    .max_flat_workgroup_size: 1024
    .name:           _Z7kernel3iiiiiiiiiiiiddPKdS0_S0_S0_S0_PdS0_S0_S0_S0_S0_S0_S0_
    .private_segment_fixed_size: 676
    .sgpr_count:     34
    .sgpr_spill_count: 0
    .symbol:         _Z7kernel3iiiiiiiiiiiiddPKdS0_S0_S0_S0_PdS0_S0_S0_S0_S0_S0_S0_.kd
    .uniform_work_group_size: 1
    .uses_dynamic_stack: false
    .vgpr_count:     128
    .vgpr_spill_count: 191
    .wavefront_size: 32
    .workgroup_processor_mode: 1
  - .args:
      - .offset:         0
        .size:           4
        .value_kind:     by_value
      - .offset:         4
        .size:           4
        .value_kind:     by_value
      - .offset:         8
        .size:           4
        .value_kind:     by_value
      - .offset:         12
        .size:           4
        .value_kind:     by_value
      - .offset:         16
        .size:           4
        .value_kind:     by_value
      - .offset:         20
        .size:           4
        .value_kind:     by_value
      - .offset:         24
        .size:           4
        .value_kind:     by_value
      - .offset:         28
        .size:           4
        .value_kind:     by_value
      - .offset:         32
        .size:           4
        .value_kind:     by_value
      - .offset:         36
        .size:           4
        .value_kind:     by_value
      - .offset:         40
        .size:           4
        .value_kind:     by_value
      - .offset:         44
        .size:           4
        .value_kind:     by_value
      - .offset:         48
        .size:           8
        .value_kind:     by_value
      - .offset:         56
        .size:           8
        .value_kind:     by_value
      - .actual_access:  read_only
        .address_space:  global
        .offset:         64
        .size:           8
        .value_kind:     global_buffer
      - .actual_access:  read_only
        .address_space:  global
        .offset:         72
        .size:           8
        .value_kind:     global_buffer
      - .actual_access:  read_only
        .address_space:  global
        .offset:         80
        .size:           8
        .value_kind:     global_buffer
      - .actual_access:  read_only
        .address_space:  global
        .offset:         88
        .size:           8
        .value_kind:     global_buffer
      - .actual_access:  read_only
        .address_space:  global
        .offset:         96
        .size:           8
        .value_kind:     global_buffer
      - .address_space:  global
        .offset:         104
        .size:           8
        .value_kind:     global_buffer
      - .actual_access:  read_only
        .address_space:  global
        .offset:         112
        .size:           8
        .value_kind:     global_buffer
      - .actual_access:  read_only
        .address_space:  global
        .offset:         120
        .size:           8
        .value_kind:     global_buffer
      - .actual_access:  read_only
        .address_space:  global
        .offset:         128
        .size:           8
        .value_kind:     global_buffer
      - .actual_access:  read_only
        .address_space:  global
        .offset:         136
        .size:           8
        .value_kind:     global_buffer
      - .actual_access:  read_only
        .address_space:  global
        .offset:         144
        .size:           8
        .value_kind:     global_buffer
      - .actual_access:  read_only
        .address_space:  global
        .offset:         152
        .size:           8
        .value_kind:     global_buffer
      - .actual_access:  read_only
        .address_space:  global
        .offset:         160
        .size:           8
        .value_kind:     global_buffer
      - .offset:         168
        .size:           4
        .value_kind:     hidden_block_count_x
      - .offset:         172
        .size:           4
        .value_kind:     hidden_block_count_y
      - .offset:         176
        .size:           4
        .value_kind:     hidden_block_count_z
      - .offset:         180
        .size:           2
        .value_kind:     hidden_group_size_x
      - .offset:         182
        .size:           2
        .value_kind:     hidden_group_size_y
      - .offset:         184
        .size:           2
        .value_kind:     hidden_group_size_z
      - .offset:         186
        .size:           2
        .value_kind:     hidden_remainder_x
      - .offset:         188
        .size:           2
        .value_kind:     hidden_remainder_y
      - .offset:         190
        .size:           2
        .value_kind:     hidden_remainder_z
      - .offset:         208
        .size:           8
        .value_kind:     hidden_global_offset_x
      - .offset:         216
        .size:           8
        .value_kind:     hidden_global_offset_y
      - .offset:         224
        .size:           8
        .value_kind:     hidden_global_offset_z
      - .offset:         232
        .size:           2
        .value_kind:     hidden_grid_dims
    .group_segment_fixed_size: 0
    .kernarg_segment_align: 8
    .kernarg_segment_size: 424
    .language:       OpenCL C
    .language_version:
      - 2
      - 0
    .max_flat_workgroup_size: 1024
    .name:           _Z7kernel4iiiiiiiiiiiiddPKdS0_S0_S0_S0_PdS0_S0_S0_S0_S0_S0_S0_
    .private_segment_fixed_size: 268
    .sgpr_count:     34
    .sgpr_spill_count: 0
    .symbol:         _Z7kernel4iiiiiiiiiiiiddPKdS0_S0_S0_S0_PdS0_S0_S0_S0_S0_S0_S0_.kd
    .uniform_work_group_size: 1
    .uses_dynamic_stack: false
    .vgpr_count:     128
    .vgpr_spill_count: 66
    .wavefront_size: 32
    .workgroup_processor_mode: 1
  - .args:
      - .offset:         0
        .size:           4
        .value_kind:     by_value
      - .offset:         4
        .size:           4
        .value_kind:     by_value
      - .offset:         8
        .size:           4
        .value_kind:     by_value
      - .offset:         12
        .size:           4
        .value_kind:     by_value
      - .offset:         16
        .size:           4
        .value_kind:     by_value
      - .offset:         20
        .size:           4
        .value_kind:     by_value
      - .offset:         24
        .size:           4
        .value_kind:     by_value
      - .offset:         28
        .size:           4
        .value_kind:     by_value
      - .offset:         32
        .size:           4
        .value_kind:     by_value
      - .offset:         36
        .size:           4
        .value_kind:     by_value
      - .offset:         40
        .size:           4
        .value_kind:     by_value
      - .offset:         44
        .size:           4
        .value_kind:     by_value
      - .offset:         48
        .size:           4
        .value_kind:     by_value
      - .offset:         56
        .size:           8
        .value_kind:     by_value
      - .offset:         64
        .size:           8
        .value_kind:     by_value
      - .actual_access:  read_only
        .address_space:  global
        .offset:         72
        .size:           8
        .value_kind:     global_buffer
      - .actual_access:  read_only
        .address_space:  global
        .offset:         80
        .size:           8
        .value_kind:     global_buffer
      - .actual_access:  read_only
        .address_space:  global
        .offset:         88
        .size:           8
        .value_kind:     global_buffer
      - .actual_access:  read_only
        .address_space:  global
        .offset:         96
        .size:           8
        .value_kind:     global_buffer
      - .actual_access:  read_only
        .address_space:  global
        .offset:         104
        .size:           8
        .value_kind:     global_buffer
      - .address_space:  global
        .offset:         112
        .size:           8
        .value_kind:     global_buffer
      - .actual_access:  read_only
        .address_space:  global
        .offset:         120
        .size:           8
        .value_kind:     global_buffer
      - .actual_access:  read_only
        .address_space:  global
        .offset:         128
        .size:           8
        .value_kind:     global_buffer
      - .actual_access:  read_only
        .address_space:  global
        .offset:         136
        .size:           8
        .value_kind:     global_buffer
      - .actual_access:  read_only
        .address_space:  global
        .offset:         144
        .size:           8
        .value_kind:     global_buffer
      - .actual_access:  read_only
        .address_space:  global
        .offset:         152
        .size:           8
        .value_kind:     global_buffer
      - .actual_access:  read_only
        .address_space:  global
        .offset:         160
        .size:           8
        .value_kind:     global_buffer
      - .actual_access:  read_only
        .address_space:  global
        .offset:         168
        .size:           8
        .value_kind:     global_buffer
      - .offset:         176
        .size:           4
        .value_kind:     hidden_block_count_x
      - .offset:         180
        .size:           4
        .value_kind:     hidden_block_count_y
      - .offset:         184
        .size:           4
        .value_kind:     hidden_block_count_z
      - .offset:         188
        .size:           2
        .value_kind:     hidden_group_size_x
      - .offset:         190
        .size:           2
        .value_kind:     hidden_group_size_y
      - .offset:         192
        .size:           2
        .value_kind:     hidden_group_size_z
      - .offset:         194
        .size:           2
        .value_kind:     hidden_remainder_x
      - .offset:         196
        .size:           2
        .value_kind:     hidden_remainder_y
      - .offset:         198
        .size:           2
        .value_kind:     hidden_remainder_z
      - .offset:         216
        .size:           8
        .value_kind:     hidden_global_offset_x
      - .offset:         224
        .size:           8
        .value_kind:     hidden_global_offset_y
      - .offset:         232
        .size:           8
        .value_kind:     hidden_global_offset_z
      - .offset:         240
        .size:           2
        .value_kind:     hidden_grid_dims
    .group_segment_fixed_size: 0
    .kernarg_segment_align: 8
    .kernarg_segment_size: 432
    .language:       OpenCL C
    .language_version:
      - 2
      - 0
    .max_flat_workgroup_size: 1024
    .name:           _Z7kernel5iiiiiiiiiiiiiddPKdS0_S0_S0_S0_PdS0_S0_S0_S0_S0_S0_S0_
    .private_segment_fixed_size: 940
    .sgpr_count:     50
    .sgpr_spill_count: 0
    .symbol:         _Z7kernel5iiiiiiiiiiiiiddPKdS0_S0_S0_S0_PdS0_S0_S0_S0_S0_S0_S0_.kd
    .uniform_work_group_size: 1
    .uses_dynamic_stack: false
    .vgpr_count:     128
    .vgpr_spill_count: 272
    .wavefront_size: 32
    .workgroup_processor_mode: 1
amdhsa.target:   amdgcn-amd-amdhsa--gfx1030
amdhsa.version:
  - 1
  - 2
...

	.end_amdgpu_metadata
